;; amdgpu-corpus repo=ROCm/rocSPARSE kind=compiled arch=gfx1100 opt=O3
	.text
	.amdgcn_target "amdgcn-amd-amdhsa--gfx1100"
	.amdhsa_code_object_version 6
	.section	.text._ZN9rocsparseL39bsrgeam_wf_per_row_multipass_2_3_kernelILj256ELj2ELj32EfEEv20rocsparse_direction_iiiNS_24const_host_device_scalarIT2_EEPKiS6_PKS3_S4_S6_S6_S8_S6_PiPS3_21rocsparse_index_base_SB_SB_b,"axG",@progbits,_ZN9rocsparseL39bsrgeam_wf_per_row_multipass_2_3_kernelILj256ELj2ELj32EfEEv20rocsparse_direction_iiiNS_24const_host_device_scalarIT2_EEPKiS6_PKS3_S4_S6_S6_S8_S6_PiPS3_21rocsparse_index_base_SB_SB_b,comdat
	.globl	_ZN9rocsparseL39bsrgeam_wf_per_row_multipass_2_3_kernelILj256ELj2ELj32EfEEv20rocsparse_direction_iiiNS_24const_host_device_scalarIT2_EEPKiS6_PKS3_S4_S6_S6_S8_S6_PiPS3_21rocsparse_index_base_SB_SB_b ; -- Begin function _ZN9rocsparseL39bsrgeam_wf_per_row_multipass_2_3_kernelILj256ELj2ELj32EfEEv20rocsparse_direction_iiiNS_24const_host_device_scalarIT2_EEPKiS6_PKS3_S4_S6_S6_S8_S6_PiPS3_21rocsparse_index_base_SB_SB_b
	.p2align	8
	.type	_ZN9rocsparseL39bsrgeam_wf_per_row_multipass_2_3_kernelILj256ELj2ELj32EfEEv20rocsparse_direction_iiiNS_24const_host_device_scalarIT2_EEPKiS6_PKS3_S4_S6_S6_S8_S6_PiPS3_21rocsparse_index_base_SB_SB_b,@function
_ZN9rocsparseL39bsrgeam_wf_per_row_multipass_2_3_kernelILj256ELj2ELj32EfEEv20rocsparse_direction_iiiNS_24const_host_device_scalarIT2_EEPKiS6_PKS3_S4_S6_S6_S8_S6_PiPS3_21rocsparse_index_base_SB_SB_b: ; @_ZN9rocsparseL39bsrgeam_wf_per_row_multipass_2_3_kernelILj256ELj2ELj32EfEEv20rocsparse_direction_iiiNS_24const_host_device_scalarIT2_EEPKiS6_PKS3_S4_S6_S6_S8_S6_PiPS3_21rocsparse_index_base_SB_SB_b
; %bb.0:
	s_clause 0x2
	s_load_b128 s[4:7], s[0:1], 0x68
	s_load_b64 s[2:3], s[0:1], 0x10
	s_load_b64 s[24:25], s[0:1], 0x30
	s_waitcnt lgkmcnt(0)
	s_bitcmp1_b32 s7, 0
	s_cselect_b32 s7, -1, 0
	s_delay_alu instid0(SALU_CYCLE_1)
	s_and_b32 vcc_lo, exec_lo, s7
	s_xor_b32 s7, s7, -1
	s_cbranch_vccnz .LBB0_2
; %bb.1:
	s_load_b32 s2, s[2:3], 0x0
.LBB0_2:
	s_and_not1_b32 vcc_lo, exec_lo, s7
	s_cbranch_vccnz .LBB0_4
; %bb.3:
	s_load_b32 s24, s[24:25], 0x0
.LBB0_4:
	s_load_b128 s[8:11], s[0:1], 0x0
	v_lshrrev_b32_e32 v7, 5, v0
	s_lshl_b32 s3, s15, 3
	s_delay_alu instid0(VALU_DEP_1) | instid1(SALU_CYCLE_1)
	v_and_or_b32 v1, 0x7fffff8, s3, v7
	s_mov_b32 s3, exec_lo
	s_waitcnt lgkmcnt(0)
	s_delay_alu instid0(VALU_DEP_1)
	v_cmpx_gt_i32_e64 s9, v1
	s_cbranch_execz .LBB0_39
; %bb.5:
	s_clause 0x2
	s_load_b128 s[12:15], s[0:1], 0x18
	s_load_b128 s[16:19], s[0:1], 0x38
	s_load_b64 s[20:21], s[0:1], 0x50
	v_lshlrev_b32_e32 v1, 2, v1
	s_waitcnt lgkmcnt(0)
	s_clause 0x2
	global_load_b64 v[5:6], v1, s[12:13]
	global_load_b64 v[3:4], v1, s[16:17]
	global_load_b32 v8, v1, s[20:21]
	s_waitcnt vmcnt(2)
	v_subrev_nc_u32_e32 v1, s4, v5
	v_cmp_lt_i32_e32 vcc_lo, v5, v6
	v_mov_b32_e32 v5, s10
	s_and_saveexec_b32 s3, vcc_lo
	s_cbranch_execz .LBB0_7
; %bb.6:
	v_ashrrev_i32_e32 v2, 31, v1
	s_delay_alu instid0(VALU_DEP_1) | instskip(NEXT) | instid1(VALU_DEP_1)
	v_lshlrev_b64 v[9:10], 2, v[1:2]
	v_add_co_u32 v9, vcc_lo, s14, v9
	s_delay_alu instid0(VALU_DEP_2)
	v_add_co_ci_u32_e32 v10, vcc_lo, s15, v10, vcc_lo
	global_load_b32 v2, v[9:10], off
	s_waitcnt vmcnt(0)
	v_subrev_nc_u32_e32 v5, s4, v2
.LBB0_7:
	s_or_b32 exec_lo, exec_lo, s3
	s_clause 0x2
	s_load_b128 s[20:23], s[0:1], 0x58
	s_load_b64 s[12:13], s[0:1], 0x28
	s_load_b64 s[16:17], s[0:1], 0x48
	s_waitcnt vmcnt(1)
	v_subrev_nc_u32_e32 v2, s5, v3
	v_cmp_lt_i32_e32 vcc_lo, v3, v4
	v_mov_b32_e32 v3, s10
	s_and_saveexec_b32 s0, vcc_lo
	s_cbranch_execz .LBB0_9
; %bb.8:
	v_ashrrev_i32_e32 v3, 31, v2
	s_delay_alu instid0(VALU_DEP_1) | instskip(NEXT) | instid1(VALU_DEP_1)
	v_lshlrev_b64 v[9:10], 2, v[2:3]
	v_add_co_u32 v9, vcc_lo, s18, v9
	s_delay_alu instid0(VALU_DEP_2)
	v_add_co_ci_u32_e32 v10, vcc_lo, s19, v10, vcc_lo
	global_load_b32 v3, v[9:10], off
	s_waitcnt vmcnt(0)
	v_subrev_nc_u32_e32 v3, s5, v3
.LBB0_9:
	s_or_b32 exec_lo, exec_lo, s0
	s_movk_i32 s0, 0xe0
	v_lshlrev_b32_e32 v14, 9, v7
	v_and_or_b32 v15, v0, s0, 0x1000
	v_mbcnt_lo_u32_b32 v7, -1, 0
	v_and_b32_e32 v0, 31, v0
	v_subrev_nc_u32_e32 v17, s5, v4
	v_min_i32_e32 v23, v3, v5
	v_subrev_nc_u32_e32 v16, s4, v6
	v_xor_b32_e32 v3, 2, v7
	v_add_nc_u32_e32 v4, v1, v0
	v_xor_b32_e32 v1, 16, v7
	v_xor_b32_e32 v5, 1, v7
	v_add_nc_u32_e32 v6, v2, v0
	v_xor_b32_e32 v2, 31, v0
	s_cmp_lg_u32 s8, 0
	v_cmp_gt_i32_e32 vcc_lo, 32, v1
	s_waitcnt vmcnt(0)
	v_subrev_nc_u32_e32 v18, s6, v8
	s_cselect_b32 s1, -1, 0
	v_lshrrev_b32_e64 v19, v2, -1
	v_xor_b32_e32 v2, 8, v7
	v_cndmask_b32_e32 v1, v7, v1, vcc_lo
	s_cmp_eq_u32 s8, 0
	s_mov_b32 s3, 0
	s_cselect_b32 s7, 8, 4
	v_cmp_gt_i32_e32 vcc_lo, 32, v2
	v_lshlrev_b32_e32 v21, 2, v1
	v_xor_b32_e32 v1, 4, v7
	v_mov_b32_e32 v9, 0
	v_dual_mov_b32 v29, 1 :: v_dual_cndmask_b32 v2, v7, v2
	s_delay_alu instid0(VALU_DEP_3) | instskip(NEXT) | instid1(VALU_DEP_2)
	v_cmp_gt_i32_e32 vcc_lo, 32, v1
	v_lshlrev_b32_e32 v24, 2, v2
	s_delay_alu instid0(VALU_DEP_4)
	v_dual_mov_b32 v2, v9 :: v_dual_cndmask_b32 v1, v7, v1
	v_cmp_gt_i32_e32 vcc_lo, 32, v3
	v_add_nc_u32_e32 v20, s6, v0
	v_lshl_or_b32 v22, v0, 4, v14
	v_add_nc_u32_e32 v28, v15, v0
	v_dual_mov_b32 v0, v9 :: v_dual_lshlrev_b32 v25, 2, v1
	v_cndmask_b32_e32 v3, v7, v3, vcc_lo
	v_cmp_gt_i32_e32 vcc_lo, 32, v5
	v_mov_b32_e32 v1, v9
	s_cselect_b32 s6, 4, 8
	s_delay_alu instid0(VALU_DEP_3) | instskip(SKIP_1) | instid1(VALU_DEP_1)
	v_dual_mov_b32 v3, v9 :: v_dual_lshlrev_b32 v26, 2, v3
	v_cndmask_b32_e32 v5, v7, v5, vcc_lo
	v_lshlrev_b32_e32 v27, 2, v5
	s_branch .LBB0_11
.LBB0_10:                               ;   in Loop: Header=BB0_11 Depth=1
	s_or_b32 exec_lo, exec_lo, s8
	ds_bpermute_b32 v5, v21, v30
	s_bcnt1_i32_b32 s8, vcc_lo
	s_delay_alu instid0(SALU_CYCLE_1)
	v_add_nc_u32_e32 v18, s8, v18
	s_waitcnt lgkmcnt(0)
	v_min_i32_e32 v5, v5, v30
	ds_bpermute_b32 v7, v24, v5
	s_waitcnt lgkmcnt(0)
	v_min_i32_e32 v5, v7, v5
	ds_bpermute_b32 v7, v25, v5
	;; [unrolled: 3-line block ×4, first 2 shown]
	s_waitcnt lgkmcnt(0)
	v_min_i32_e32 v23, v7, v5
	s_delay_alu instid0(VALU_DEP_1) | instskip(NEXT) | instid1(VALU_DEP_1)
	v_cmp_le_i32_e64 s0, s10, v23
	s_or_b32 s3, s0, s3
	s_delay_alu instid0(SALU_CYCLE_1)
	s_and_not1_b32 exec_lo, exec_lo, s3
	s_cbranch_execz .LBB0_39
.LBB0_11:                               ; =>This Loop Header: Depth=1
                                        ;     Child Loop BB0_14 Depth 2
                                        ;     Child Loop BB0_27 Depth 2
	v_mov_b32_e32 v30, s10
	s_mov_b32 s8, exec_lo
	ds_store_b8 v28, v9
	ds_store_b128 v22, v[0:3]
	s_waitcnt lgkmcnt(0)
	buffer_gl0_inv
	v_cmpx_lt_i32_e64 v4, v16
	s_cbranch_execz .LBB0_24
; %bb.12:                               ;   in Loop: Header=BB0_11 Depth=1
	v_lshlrev_b32_e32 v8, 2, v4
	v_mov_b32_e32 v30, s10
	s_mov_b32 s9, 0
	s_branch .LBB0_14
.LBB0_13:                               ;   in Loop: Header=BB0_14 Depth=2
	s_or_b32 exec_lo, exec_lo, s25
	s_delay_alu instid0(SALU_CYCLE_1) | instskip(NEXT) | instid1(SALU_CYCLE_1)
	s_and_b32 s0, exec_lo, s11
	s_or_b32 s9, s0, s9
	s_delay_alu instid0(SALU_CYCLE_1)
	s_and_not1_b32 exec_lo, exec_lo, s9
	s_cbranch_execz .LBB0_23
.LBB0_14:                               ;   Parent Loop BB0_11 Depth=1
                                        ; =>  This Inner Loop Header: Depth=2
	v_ashrrev_i32_e32 v5, 31, v4
	s_mov_b32 s11, exec_lo
	s_delay_alu instid0(VALU_DEP_1) | instskip(NEXT) | instid1(VALU_DEP_1)
	v_lshlrev_b64 v[10:11], 2, v[4:5]
	v_add_co_u32 v10, vcc_lo, s14, v10
	s_delay_alu instid0(VALU_DEP_2) | instskip(SKIP_3) | instid1(VALU_DEP_1)
	v_add_co_ci_u32_e32 v11, vcc_lo, s15, v11, vcc_lo
	global_load_b32 v5, v[10:11], off
	s_waitcnt vmcnt(0)
	v_subrev_nc_u32_e32 v7, s4, v5
	v_sub_nc_u32_e32 v5, v7, v23
	s_delay_alu instid0(VALU_DEP_1)
	v_cmp_gt_u32_e64 s0, 32, v5
	v_cmpx_lt_u32_e32 31, v5
	s_xor_b32 s11, exec_lo, s11
; %bb.15:                               ;   in Loop: Header=BB0_14 Depth=2
	v_min_i32_e32 v30, v7, v30
                                        ; implicit-def: $vgpr5
; %bb.16:                               ;   in Loop: Header=BB0_14 Depth=2
	s_and_not1_saveexec_b32 s11, s11
	s_cbranch_execz .LBB0_21
; %bb.17:                               ;   in Loop: Header=BB0_14 Depth=2
	v_lshlrev_b64 v[10:11], 2, v[8:9]
	v_add_nc_u32_e32 v13, v15, v5
	s_delay_alu instid0(VALU_DEP_2) | instskip(NEXT) | instid1(VALU_DEP_3)
	v_add_co_u32 v10, vcc_lo, s12, v10
	v_add_co_ci_u32_e32 v11, vcc_lo, s13, v11, vcc_lo
	s_and_not1_b32 vcc_lo, exec_lo, s1
	global_load_b32 v7, v[10:11], off
	s_waitcnt vmcnt(0)
	v_dual_mul_f32 v7, s2, v7 :: v_dual_lshlrev_b32 v12, 4, v5
	s_delay_alu instid0(VALU_DEP_1)
	v_add_nc_u32_e32 v5, v14, v12
	ds_store_b8 v13, v29
	ds_store_b32 v5, v7
	s_cbranch_vccnz .LBB0_19
; %bb.18:                               ;   in Loop: Header=BB0_14 Depth=2
	global_load_b96 v[31:33], v[10:11], off offset:4
	s_waitcnt vmcnt(0)
	v_dual_mul_f32 v7, s2, v32 :: v_dual_mul_f32 v12, s2, v31
	v_mul_f32_e32 v13, s2, v33
	ds_store_2addr_b32 v5, v7, v12 offset0:1 offset1:2
	ds_store_b32 v5, v13 offset:12
	s_cbranch_execz .LBB0_20
	s_branch .LBB0_21
.LBB0_19:                               ;   in Loop: Header=BB0_14 Depth=2
.LBB0_20:                               ;   in Loop: Header=BB0_14 Depth=2
	global_load_b96 v[10:12], v[10:11], off offset:4
	s_waitcnt vmcnt(0)
	v_dual_mul_f32 v7, s2, v10 :: v_dual_mul_f32 v10, s2, v11
	v_mul_f32_e32 v11, s2, v12
	ds_store_2addr_b32 v5, v7, v10 offset0:1 offset1:2
	ds_store_b32 v5, v11 offset:12
.LBB0_21:                               ;   in Loop: Header=BB0_14 Depth=2
	s_or_b32 exec_lo, exec_lo, s11
	s_mov_b32 s11, -1
	s_and_saveexec_b32 s25, s0
	s_cbranch_execz .LBB0_13
; %bb.22:                               ;   in Loop: Header=BB0_14 Depth=2
	v_add_nc_u32_e32 v4, 32, v4
	v_add_nc_u32_e32 v8, 0x80, v8
	s_delay_alu instid0(VALU_DEP_2)
	v_cmp_ge_i32_e32 vcc_lo, v4, v16
	s_or_not1_b32 s11, vcc_lo, exec_lo
	s_branch .LBB0_13
.LBB0_23:                               ;   in Loop: Header=BB0_11 Depth=1
	s_or_b32 exec_lo, exec_lo, s9
.LBB0_24:                               ;   in Loop: Header=BB0_11 Depth=1
	s_delay_alu instid0(SALU_CYCLE_1) | instskip(NEXT) | instid1(SALU_CYCLE_1)
	s_or_b32 exec_lo, exec_lo, s8
	s_mov_b32 s8, exec_lo
	s_waitcnt lgkmcnt(0)
	buffer_gl0_inv
	v_cmpx_lt_i32_e64 v6, v17
	s_cbranch_execz .LBB0_37
; %bb.25:                               ;   in Loop: Header=BB0_11 Depth=1
	v_lshlrev_b32_e32 v8, 2, v6
	s_mov_b32 s9, 0
	s_branch .LBB0_27
.LBB0_26:                               ;   in Loop: Header=BB0_27 Depth=2
	s_or_b32 exec_lo, exec_lo, s25
	s_delay_alu instid0(SALU_CYCLE_1) | instskip(NEXT) | instid1(SALU_CYCLE_1)
	s_and_b32 s0, exec_lo, s11
	s_or_b32 s9, s0, s9
	s_delay_alu instid0(SALU_CYCLE_1)
	s_and_not1_b32 exec_lo, exec_lo, s9
	s_cbranch_execz .LBB0_36
.LBB0_27:                               ;   Parent Loop BB0_11 Depth=1
                                        ; =>  This Inner Loop Header: Depth=2
	v_ashrrev_i32_e32 v7, 31, v6
	s_mov_b32 s11, exec_lo
	s_delay_alu instid0(VALU_DEP_1) | instskip(NEXT) | instid1(VALU_DEP_1)
	v_lshlrev_b64 v[10:11], 2, v[6:7]
	v_add_co_u32 v10, vcc_lo, s18, v10
	s_delay_alu instid0(VALU_DEP_2) | instskip(SKIP_3) | instid1(VALU_DEP_1)
	v_add_co_ci_u32_e32 v11, vcc_lo, s19, v11, vcc_lo
	global_load_b32 v5, v[10:11], off
	s_waitcnt vmcnt(0)
	v_subrev_nc_u32_e32 v5, s5, v5
	v_sub_nc_u32_e32 v7, v5, v23
	s_delay_alu instid0(VALU_DEP_1)
	v_cmp_gt_u32_e64 s0, 32, v7
	v_cmpx_lt_u32_e32 31, v7
	s_xor_b32 s11, exec_lo, s11
; %bb.28:                               ;   in Loop: Header=BB0_27 Depth=2
	v_min_i32_e32 v30, v5, v30
                                        ; implicit-def: $vgpr7
; %bb.29:                               ;   in Loop: Header=BB0_27 Depth=2
	s_and_not1_saveexec_b32 s11, s11
	s_cbranch_execz .LBB0_34
; %bb.30:                               ;   in Loop: Header=BB0_27 Depth=2
	v_lshlrev_b64 v[10:11], 2, v[8:9]
	v_lshlrev_b32_e32 v5, 4, v7
	v_add_nc_u32_e32 v7, v15, v7
	s_delay_alu instid0(VALU_DEP_2) | instskip(NEXT) | instid1(VALU_DEP_4)
	v_add_nc_u32_e32 v5, v14, v5
	v_add_co_u32 v12, vcc_lo, s16, v10
	v_add_co_ci_u32_e32 v13, vcc_lo, s17, v11, vcc_lo
	ds_load_b64 v[10:11], v5
	s_and_not1_b32 vcc_lo, exec_lo, s1
	global_load_b32 v31, v[12:13], off
	s_waitcnt vmcnt(0) lgkmcnt(0)
	v_fma_f32 v10, s24, v31, v10
	ds_store_b8 v7, v29
	ds_store_b32 v5, v10
	s_cbranch_vccnz .LBB0_32
; %bb.31:                               ;   in Loop: Header=BB0_27 Depth=2
	global_load_b96 v[31:33], v[12:13], off offset:4
	ds_load_b64 v[34:35], v5 offset:8
	s_waitcnt vmcnt(0)
	v_fma_f32 v7, s24, v32, v11
	s_waitcnt lgkmcnt(0)
	v_fma_f32 v10, s24, v31, v34
	v_fmac_f32_e32 v35, s24, v33
	ds_store_2addr_b32 v5, v7, v10 offset0:1 offset1:2
	ds_store_b32 v5, v35 offset:12
	s_cbranch_execz .LBB0_33
	s_branch .LBB0_34
.LBB0_32:                               ;   in Loop: Header=BB0_27 Depth=2
.LBB0_33:                               ;   in Loop: Header=BB0_27 Depth=2
	global_load_b96 v[31:33], v[12:13], off offset:4
	ds_load_b64 v[12:13], v5 offset:8
	s_waitcnt vmcnt(0)
	v_fmac_f32_e32 v11, s24, v31
	s_waitcnt lgkmcnt(0)
	v_fma_f32 v7, s24, v32, v12
	v_fmac_f32_e32 v13, s24, v33
	ds_store_2addr_b32 v5, v11, v7 offset0:1 offset1:2
	ds_store_b32 v5, v13 offset:12
.LBB0_34:                               ;   in Loop: Header=BB0_27 Depth=2
	s_or_b32 exec_lo, exec_lo, s11
	s_mov_b32 s11, -1
	s_and_saveexec_b32 s25, s0
	s_cbranch_execz .LBB0_26
; %bb.35:                               ;   in Loop: Header=BB0_27 Depth=2
	v_add_nc_u32_e32 v6, 32, v6
	v_add_nc_u32_e32 v8, 0x80, v8
	s_delay_alu instid0(VALU_DEP_2)
	v_cmp_ge_i32_e32 vcc_lo, v6, v17
	s_or_not1_b32 s11, vcc_lo, exec_lo
	s_branch .LBB0_26
.LBB0_36:                               ;   in Loop: Header=BB0_11 Depth=1
	s_or_b32 exec_lo, exec_lo, s9
.LBB0_37:                               ;   in Loop: Header=BB0_11 Depth=1
	s_delay_alu instid0(SALU_CYCLE_1)
	s_or_b32 exec_lo, exec_lo, s8
	s_waitcnt lgkmcnt(0)
	buffer_gl0_inv
	ds_load_u8 v5, v28
	s_mov_b32 s8, exec_lo
	s_waitcnt lgkmcnt(0)
	v_and_b32_e32 v7, 1, v5
	v_cmp_ne_u16_e32 vcc_lo, 0, v5
	s_delay_alu instid0(VALU_DEP_2)
	v_cmpx_eq_u32_e32 1, v7
	s_cbranch_execz .LBB0_10
; %bb.38:                               ;   in Loop: Header=BB0_11 Depth=1
	ds_load_2addr_b32 v[31:32], v22 offset1:3
	v_and_b32_e32 v5, vcc_lo, v19
	s_waitcnt lgkmcnt(0)
	v_dual_mov_b32 v10, v31 :: v_dual_add_nc_u32 v7, s7, v22
	s_delay_alu instid0(VALU_DEP_2) | instskip(SKIP_1) | instid1(VALU_DEP_2)
	v_bcnt_u32_b32 v5, v5, 0
	v_mov_b32_e32 v13, v32
	v_add3_u32 v33, v18, v5, -1
	v_add_nc_u32_e32 v5, s6, v22
	ds_load_b32 v11, v5
	ds_load_b32 v12, v7
	v_ashrrev_i32_e32 v34, 31, v33
	v_lshlrev_b32_e32 v8, 2, v33
	v_add_nc_u32_e32 v5, v20, v23
	s_delay_alu instid0(VALU_DEP_3) | instskip(NEXT) | instid1(VALU_DEP_3)
	v_lshlrev_b64 v[33:34], 2, v[33:34]
	v_lshlrev_b64 v[7:8], 2, v[8:9]
	s_delay_alu instid0(VALU_DEP_2) | instskip(NEXT) | instid1(VALU_DEP_1)
	v_add_co_u32 v31, s0, s20, v33
	v_add_co_ci_u32_e64 v32, s0, s21, v34, s0
	s_delay_alu instid0(VALU_DEP_3) | instskip(NEXT) | instid1(VALU_DEP_1)
	v_add_co_u32 v7, s0, s22, v7
	v_add_co_ci_u32_e64 v8, s0, s23, v8, s0
	global_store_b32 v[31:32], v5, off
	s_waitcnt lgkmcnt(0)
	global_store_b128 v[7:8], v[10:13], off
	s_branch .LBB0_10
.LBB0_39:
	s_nop 0
	s_sendmsg sendmsg(MSG_DEALLOC_VGPRS)
	s_endpgm
	.section	.rodata,"a",@progbits
	.p2align	6, 0x0
	.amdhsa_kernel _ZN9rocsparseL39bsrgeam_wf_per_row_multipass_2_3_kernelILj256ELj2ELj32EfEEv20rocsparse_direction_iiiNS_24const_host_device_scalarIT2_EEPKiS6_PKS3_S4_S6_S6_S8_S6_PiPS3_21rocsparse_index_base_SB_SB_b
		.amdhsa_group_segment_fixed_size 4352
		.amdhsa_private_segment_fixed_size 0
		.amdhsa_kernarg_size 120
		.amdhsa_user_sgpr_count 15
		.amdhsa_user_sgpr_dispatch_ptr 0
		.amdhsa_user_sgpr_queue_ptr 0
		.amdhsa_user_sgpr_kernarg_segment_ptr 1
		.amdhsa_user_sgpr_dispatch_id 0
		.amdhsa_user_sgpr_private_segment_size 0
		.amdhsa_wavefront_size32 1
		.amdhsa_uses_dynamic_stack 0
		.amdhsa_enable_private_segment 0
		.amdhsa_system_sgpr_workgroup_id_x 1
		.amdhsa_system_sgpr_workgroup_id_y 0
		.amdhsa_system_sgpr_workgroup_id_z 0
		.amdhsa_system_sgpr_workgroup_info 0
		.amdhsa_system_vgpr_workitem_id 0
		.amdhsa_next_free_vgpr 36
		.amdhsa_next_free_sgpr 26
		.amdhsa_reserve_vcc 1
		.amdhsa_float_round_mode_32 0
		.amdhsa_float_round_mode_16_64 0
		.amdhsa_float_denorm_mode_32 3
		.amdhsa_float_denorm_mode_16_64 3
		.amdhsa_dx10_clamp 1
		.amdhsa_ieee_mode 1
		.amdhsa_fp16_overflow 0
		.amdhsa_workgroup_processor_mode 1
		.amdhsa_memory_ordered 1
		.amdhsa_forward_progress 0
		.amdhsa_shared_vgpr_count 0
		.amdhsa_exception_fp_ieee_invalid_op 0
		.amdhsa_exception_fp_denorm_src 0
		.amdhsa_exception_fp_ieee_div_zero 0
		.amdhsa_exception_fp_ieee_overflow 0
		.amdhsa_exception_fp_ieee_underflow 0
		.amdhsa_exception_fp_ieee_inexact 0
		.amdhsa_exception_int_div_zero 0
	.end_amdhsa_kernel
	.section	.text._ZN9rocsparseL39bsrgeam_wf_per_row_multipass_2_3_kernelILj256ELj2ELj32EfEEv20rocsparse_direction_iiiNS_24const_host_device_scalarIT2_EEPKiS6_PKS3_S4_S6_S6_S8_S6_PiPS3_21rocsparse_index_base_SB_SB_b,"axG",@progbits,_ZN9rocsparseL39bsrgeam_wf_per_row_multipass_2_3_kernelILj256ELj2ELj32EfEEv20rocsparse_direction_iiiNS_24const_host_device_scalarIT2_EEPKiS6_PKS3_S4_S6_S6_S8_S6_PiPS3_21rocsparse_index_base_SB_SB_b,comdat
.Lfunc_end0:
	.size	_ZN9rocsparseL39bsrgeam_wf_per_row_multipass_2_3_kernelILj256ELj2ELj32EfEEv20rocsparse_direction_iiiNS_24const_host_device_scalarIT2_EEPKiS6_PKS3_S4_S6_S6_S8_S6_PiPS3_21rocsparse_index_base_SB_SB_b, .Lfunc_end0-_ZN9rocsparseL39bsrgeam_wf_per_row_multipass_2_3_kernelILj256ELj2ELj32EfEEv20rocsparse_direction_iiiNS_24const_host_device_scalarIT2_EEPKiS6_PKS3_S4_S6_S6_S8_S6_PiPS3_21rocsparse_index_base_SB_SB_b
                                        ; -- End function
	.section	.AMDGPU.csdata,"",@progbits
; Kernel info:
; codeLenInByte = 1788
; NumSgprs: 28
; NumVgprs: 36
; ScratchSize: 0
; MemoryBound: 0
; FloatMode: 240
; IeeeMode: 1
; LDSByteSize: 4352 bytes/workgroup (compile time only)
; SGPRBlocks: 3
; VGPRBlocks: 4
; NumSGPRsForWavesPerEU: 28
; NumVGPRsForWavesPerEU: 36
; Occupancy: 16
; WaveLimiterHint : 1
; COMPUTE_PGM_RSRC2:SCRATCH_EN: 0
; COMPUTE_PGM_RSRC2:USER_SGPR: 15
; COMPUTE_PGM_RSRC2:TRAP_HANDLER: 0
; COMPUTE_PGM_RSRC2:TGID_X_EN: 1
; COMPUTE_PGM_RSRC2:TGID_Y_EN: 0
; COMPUTE_PGM_RSRC2:TGID_Z_EN: 0
; COMPUTE_PGM_RSRC2:TIDIG_COMP_CNT: 0
	.section	.text._ZN9rocsparseL39bsrgeam_wf_per_row_multipass_2_3_kernelILj256ELj2ELj64EfEEv20rocsparse_direction_iiiNS_24const_host_device_scalarIT2_EEPKiS6_PKS3_S4_S6_S6_S8_S6_PiPS3_21rocsparse_index_base_SB_SB_b,"axG",@progbits,_ZN9rocsparseL39bsrgeam_wf_per_row_multipass_2_3_kernelILj256ELj2ELj64EfEEv20rocsparse_direction_iiiNS_24const_host_device_scalarIT2_EEPKiS6_PKS3_S4_S6_S6_S8_S6_PiPS3_21rocsparse_index_base_SB_SB_b,comdat
	.globl	_ZN9rocsparseL39bsrgeam_wf_per_row_multipass_2_3_kernelILj256ELj2ELj64EfEEv20rocsparse_direction_iiiNS_24const_host_device_scalarIT2_EEPKiS6_PKS3_S4_S6_S6_S8_S6_PiPS3_21rocsparse_index_base_SB_SB_b ; -- Begin function _ZN9rocsparseL39bsrgeam_wf_per_row_multipass_2_3_kernelILj256ELj2ELj64EfEEv20rocsparse_direction_iiiNS_24const_host_device_scalarIT2_EEPKiS6_PKS3_S4_S6_S6_S8_S6_PiPS3_21rocsparse_index_base_SB_SB_b
	.p2align	8
	.type	_ZN9rocsparseL39bsrgeam_wf_per_row_multipass_2_3_kernelILj256ELj2ELj64EfEEv20rocsparse_direction_iiiNS_24const_host_device_scalarIT2_EEPKiS6_PKS3_S4_S6_S6_S8_S6_PiPS3_21rocsparse_index_base_SB_SB_b,@function
_ZN9rocsparseL39bsrgeam_wf_per_row_multipass_2_3_kernelILj256ELj2ELj64EfEEv20rocsparse_direction_iiiNS_24const_host_device_scalarIT2_EEPKiS6_PKS3_S4_S6_S6_S8_S6_PiPS3_21rocsparse_index_base_SB_SB_b: ; @_ZN9rocsparseL39bsrgeam_wf_per_row_multipass_2_3_kernelILj256ELj2ELj64EfEEv20rocsparse_direction_iiiNS_24const_host_device_scalarIT2_EEPKiS6_PKS3_S4_S6_S6_S8_S6_PiPS3_21rocsparse_index_base_SB_SB_b
; %bb.0:
	s_clause 0x2
	s_load_b128 s[4:7], s[0:1], 0x68
	s_load_b64 s[2:3], s[0:1], 0x10
	s_load_b64 s[24:25], s[0:1], 0x30
	s_waitcnt lgkmcnt(0)
	s_bitcmp1_b32 s7, 0
	s_cselect_b32 s7, -1, 0
	s_delay_alu instid0(SALU_CYCLE_1)
	s_and_b32 vcc_lo, exec_lo, s7
	s_xor_b32 s7, s7, -1
	s_cbranch_vccnz .LBB1_2
; %bb.1:
	s_load_b32 s2, s[2:3], 0x0
.LBB1_2:
	s_and_not1_b32 vcc_lo, exec_lo, s7
	s_cbranch_vccnz .LBB1_4
; %bb.3:
	s_load_b32 s24, s[24:25], 0x0
.LBB1_4:
	s_load_b128 s[8:11], s[0:1], 0x0
	v_lshrrev_b32_e32 v7, 6, v0
	s_lshl_b32 s3, s15, 2
	s_delay_alu instid0(VALU_DEP_1) | instid1(SALU_CYCLE_1)
	v_and_or_b32 v1, 0x3fffffc, s3, v7
	s_mov_b32 s3, exec_lo
	s_waitcnt lgkmcnt(0)
	s_delay_alu instid0(VALU_DEP_1)
	v_cmpx_gt_i32_e64 s9, v1
	s_cbranch_execz .LBB1_39
; %bb.5:
	s_clause 0x2
	s_load_b128 s[12:15], s[0:1], 0x18
	s_load_b128 s[16:19], s[0:1], 0x38
	s_load_b64 s[20:21], s[0:1], 0x50
	v_lshlrev_b32_e32 v1, 2, v1
	s_waitcnt lgkmcnt(0)
	s_clause 0x2
	global_load_b64 v[5:6], v1, s[12:13]
	global_load_b64 v[3:4], v1, s[16:17]
	global_load_b32 v8, v1, s[20:21]
	s_waitcnt vmcnt(2)
	v_subrev_nc_u32_e32 v1, s4, v5
	v_cmp_lt_i32_e32 vcc_lo, v5, v6
	v_mov_b32_e32 v5, s10
	s_and_saveexec_b32 s3, vcc_lo
	s_cbranch_execz .LBB1_7
; %bb.6:
	v_ashrrev_i32_e32 v2, 31, v1
	s_delay_alu instid0(VALU_DEP_1) | instskip(NEXT) | instid1(VALU_DEP_1)
	v_lshlrev_b64 v[9:10], 2, v[1:2]
	v_add_co_u32 v9, vcc_lo, s14, v9
	s_delay_alu instid0(VALU_DEP_2)
	v_add_co_ci_u32_e32 v10, vcc_lo, s15, v10, vcc_lo
	global_load_b32 v2, v[9:10], off
	s_waitcnt vmcnt(0)
	v_subrev_nc_u32_e32 v5, s4, v2
.LBB1_7:
	s_or_b32 exec_lo, exec_lo, s3
	s_clause 0x2
	s_load_b128 s[20:23], s[0:1], 0x58
	s_load_b64 s[12:13], s[0:1], 0x28
	s_load_b64 s[16:17], s[0:1], 0x48
	s_waitcnt vmcnt(1)
	v_subrev_nc_u32_e32 v2, s5, v3
	v_cmp_lt_i32_e32 vcc_lo, v3, v4
	v_mov_b32_e32 v3, s10
	s_and_saveexec_b32 s0, vcc_lo
	s_cbranch_execz .LBB1_9
; %bb.8:
	v_ashrrev_i32_e32 v3, 31, v2
	s_delay_alu instid0(VALU_DEP_1) | instskip(NEXT) | instid1(VALU_DEP_1)
	v_lshlrev_b64 v[9:10], 2, v[2:3]
	v_add_co_u32 v9, vcc_lo, s18, v9
	s_delay_alu instid0(VALU_DEP_2)
	v_add_co_ci_u32_e32 v10, vcc_lo, s19, v10, vcc_lo
	global_load_b32 v3, v[9:10], off
	s_waitcnt vmcnt(0)
	v_subrev_nc_u32_e32 v3, s5, v3
.LBB1_9:
	s_or_b32 exec_lo, exec_lo, s0
	s_movk_i32 s0, 0xc0
	v_lshlrev_b32_e32 v15, 10, v7
	v_and_or_b32 v16, v0, s0, 0x1000
	v_mbcnt_lo_u32_b32 v7, -1, 0
	v_and_b32_e32 v0, 63, v0
	v_subrev_nc_u32_e32 v18, s5, v4
	v_min_i32_e32 v24, v3, v5
	v_subrev_nc_u32_e32 v17, s4, v6
	v_xor_b32_e32 v3, 16, v7
	v_add_nc_u32_e32 v4, v1, v0
	v_or_b32_e32 v1, 32, v7
	s_waitcnt vmcnt(0)
	v_subrev_nc_u32_e32 v19, s6, v8
	v_xor_b32_e32 v5, 1, v7
	s_cmp_lg_u32 s8, 0
	s_mov_b32 s3, 0
	v_cmp_gt_i32_e32 vcc_lo, 32, v1
	s_cselect_b32 s1, -1, 0
	v_mov_b32_e32 v30, 1
	s_cmp_eq_u32 s8, 0
	v_dual_mov_b32 v10, 0 :: v_dual_cndmask_b32 v1, v7, v1
	v_add_nc_u32_e32 v6, v2, v0
	v_xor_b32_e32 v2, 63, v0
	v_cmp_gt_i32_e32 vcc_lo, 32, v3
	v_add_nc_u32_e32 v29, v16, v0
	v_lshlrev_b32_e32 v21, 2, v1
	v_xor_b32_e32 v1, 8, v7
	v_lshrrev_b64 v[8:9], v2, -1
	v_cndmask_b32_e32 v2, v7, v3, vcc_lo
	v_xor_b32_e32 v3, 2, v7
	s_cselect_b32 s7, 8, 4
	v_cmp_gt_i32_e32 vcc_lo, 32, v1
	s_delay_alu instid0(VALU_DEP_3) | instskip(SKIP_2) | instid1(VALU_DEP_2)
	v_lshlrev_b32_e32 v23, 2, v2
	v_xor_b32_e32 v2, 4, v7
	v_cndmask_b32_e32 v1, v7, v1, vcc_lo
	v_cmp_gt_i32_e32 vcc_lo, 32, v2
	s_delay_alu instid0(VALU_DEP_2) | instskip(SKIP_3) | instid1(VALU_DEP_3)
	v_lshlrev_b32_e32 v25, 2, v1
	v_dual_mov_b32 v1, v10 :: v_dual_cndmask_b32 v2, v7, v2
	v_cmp_gt_i32_e32 vcc_lo, 32, v3
	v_lshl_or_b32 v22, v0, 4, v15
	v_dual_cndmask_b32 v3, v7, v3 :: v_dual_lshlrev_b32 v26, 2, v2
	v_cmp_gt_i32_e32 vcc_lo, 32, v5
	v_add_nc_u32_e32 v20, s6, v0
	v_mov_b32_e32 v0, v10
	s_delay_alu instid0(VALU_DEP_4) | instskip(SKIP_3) | instid1(VALU_DEP_2)
	v_dual_mov_b32 v2, v10 :: v_dual_lshlrev_b32 v27, 2, v3
	v_cndmask_b32_e32 v5, v7, v5, vcc_lo
	v_mov_b32_e32 v3, v10
	s_cselect_b32 s6, 4, 8
	v_lshlrev_b32_e32 v28, 2, v5
	s_branch .LBB1_11
.LBB1_10:                               ;   in Loop: Header=BB1_11 Depth=1
	s_or_b32 exec_lo, exec_lo, s8
	ds_bpermute_b32 v5, v21, v31
	s_bcnt1_i32_b32 s8, vcc_lo
	s_delay_alu instid0(SALU_CYCLE_1)
	v_add_nc_u32_e32 v19, s8, v19
	s_waitcnt lgkmcnt(0)
	v_min_i32_e32 v5, v5, v31
	ds_bpermute_b32 v7, v23, v5
	s_waitcnt lgkmcnt(0)
	v_min_i32_e32 v5, v7, v5
	ds_bpermute_b32 v7, v25, v5
	;; [unrolled: 3-line block ×5, first 2 shown]
	s_waitcnt lgkmcnt(0)
	v_min_i32_e32 v24, v7, v5
	s_delay_alu instid0(VALU_DEP_1) | instskip(NEXT) | instid1(VALU_DEP_1)
	v_cmp_le_i32_e64 s0, s10, v24
	s_or_b32 s3, s0, s3
	s_delay_alu instid0(SALU_CYCLE_1)
	s_and_not1_b32 exec_lo, exec_lo, s3
	s_cbranch_execz .LBB1_39
.LBB1_11:                               ; =>This Loop Header: Depth=1
                                        ;     Child Loop BB1_14 Depth 2
                                        ;     Child Loop BB1_27 Depth 2
	v_mov_b32_e32 v31, s10
	s_mov_b32 s8, exec_lo
	ds_store_b8 v29, v10
	ds_store_b128 v22, v[0:3]
	s_waitcnt lgkmcnt(0)
	buffer_gl0_inv
	v_cmpx_lt_i32_e64 v4, v17
	s_cbranch_execz .LBB1_24
; %bb.12:                               ;   in Loop: Header=BB1_11 Depth=1
	v_lshlrev_b32_e32 v9, 2, v4
	v_mov_b32_e32 v31, s10
	s_mov_b32 s9, 0
	s_branch .LBB1_14
.LBB1_13:                               ;   in Loop: Header=BB1_14 Depth=2
	s_or_b32 exec_lo, exec_lo, s25
	s_delay_alu instid0(SALU_CYCLE_1) | instskip(NEXT) | instid1(SALU_CYCLE_1)
	s_and_b32 s0, exec_lo, s11
	s_or_b32 s9, s0, s9
	s_delay_alu instid0(SALU_CYCLE_1)
	s_and_not1_b32 exec_lo, exec_lo, s9
	s_cbranch_execz .LBB1_23
.LBB1_14:                               ;   Parent Loop BB1_11 Depth=1
                                        ; =>  This Inner Loop Header: Depth=2
	v_ashrrev_i32_e32 v5, 31, v4
	s_mov_b32 s11, exec_lo
	s_delay_alu instid0(VALU_DEP_1) | instskip(NEXT) | instid1(VALU_DEP_1)
	v_lshlrev_b64 v[11:12], 2, v[4:5]
	v_add_co_u32 v11, vcc_lo, s14, v11
	s_delay_alu instid0(VALU_DEP_2) | instskip(SKIP_3) | instid1(VALU_DEP_1)
	v_add_co_ci_u32_e32 v12, vcc_lo, s15, v12, vcc_lo
	global_load_b32 v5, v[11:12], off
	s_waitcnt vmcnt(0)
	v_subrev_nc_u32_e32 v7, s4, v5
	v_sub_nc_u32_e32 v5, v7, v24
	s_delay_alu instid0(VALU_DEP_1)
	v_cmp_gt_u32_e64 s0, 64, v5
	v_cmpx_lt_u32_e32 63, v5
	s_xor_b32 s11, exec_lo, s11
; %bb.15:                               ;   in Loop: Header=BB1_14 Depth=2
	v_min_i32_e32 v31, v7, v31
                                        ; implicit-def: $vgpr5
; %bb.16:                               ;   in Loop: Header=BB1_14 Depth=2
	s_and_not1_saveexec_b32 s11, s11
	s_cbranch_execz .LBB1_21
; %bb.17:                               ;   in Loop: Header=BB1_14 Depth=2
	v_lshlrev_b64 v[11:12], 2, v[9:10]
	v_lshlrev_b32_e32 v13, 4, v5
	s_delay_alu instid0(VALU_DEP_2) | instskip(NEXT) | instid1(VALU_DEP_3)
	v_add_co_u32 v11, vcc_lo, s12, v11
	v_add_co_ci_u32_e32 v12, vcc_lo, s13, v12, vcc_lo
	s_and_not1_b32 vcc_lo, exec_lo, s1
	global_load_b32 v7, v[11:12], off
	v_add_nc_u32_e32 v14, v16, v5
	v_add_nc_u32_e32 v5, v15, v13
	s_waitcnt vmcnt(0)
	v_mul_f32_e32 v7, s2, v7
	ds_store_b8 v14, v30
	ds_store_b32 v5, v7
	s_cbranch_vccnz .LBB1_19
; %bb.18:                               ;   in Loop: Header=BB1_14 Depth=2
	global_load_b96 v[32:34], v[11:12], off offset:4
	s_waitcnt vmcnt(0)
	v_dual_mul_f32 v7, s2, v33 :: v_dual_mul_f32 v14, s2, v34
	v_mul_f32_e32 v13, s2, v32
	ds_store_2addr_b32 v5, v7, v13 offset0:1 offset1:2
	ds_store_b32 v5, v14 offset:12
	s_cbranch_execz .LBB1_20
	s_branch .LBB1_21
.LBB1_19:                               ;   in Loop: Header=BB1_14 Depth=2
.LBB1_20:                               ;   in Loop: Header=BB1_14 Depth=2
	global_load_b96 v[11:13], v[11:12], off offset:4
	s_waitcnt vmcnt(0)
	v_mul_f32_e32 v7, s2, v11
	v_dual_mul_f32 v11, s2, v12 :: v_dual_mul_f32 v12, s2, v13
	ds_store_2addr_b32 v5, v7, v11 offset0:1 offset1:2
	ds_store_b32 v5, v12 offset:12
.LBB1_21:                               ;   in Loop: Header=BB1_14 Depth=2
	s_or_b32 exec_lo, exec_lo, s11
	s_mov_b32 s11, -1
	s_and_saveexec_b32 s25, s0
	s_cbranch_execz .LBB1_13
; %bb.22:                               ;   in Loop: Header=BB1_14 Depth=2
	v_add_nc_u32_e32 v4, 64, v4
	v_add_nc_u32_e32 v9, 0x100, v9
	s_delay_alu instid0(VALU_DEP_2)
	v_cmp_ge_i32_e32 vcc_lo, v4, v17
	s_or_not1_b32 s11, vcc_lo, exec_lo
	s_branch .LBB1_13
.LBB1_23:                               ;   in Loop: Header=BB1_11 Depth=1
	s_or_b32 exec_lo, exec_lo, s9
.LBB1_24:                               ;   in Loop: Header=BB1_11 Depth=1
	s_delay_alu instid0(SALU_CYCLE_1) | instskip(NEXT) | instid1(SALU_CYCLE_1)
	s_or_b32 exec_lo, exec_lo, s8
	s_mov_b32 s8, exec_lo
	s_waitcnt lgkmcnt(0)
	buffer_gl0_inv
	v_cmpx_lt_i32_e64 v6, v18
	s_cbranch_execz .LBB1_37
; %bb.25:                               ;   in Loop: Header=BB1_11 Depth=1
	v_lshlrev_b32_e32 v9, 2, v6
	s_mov_b32 s9, 0
	s_branch .LBB1_27
.LBB1_26:                               ;   in Loop: Header=BB1_27 Depth=2
	s_or_b32 exec_lo, exec_lo, s25
	s_delay_alu instid0(SALU_CYCLE_1) | instskip(NEXT) | instid1(SALU_CYCLE_1)
	s_and_b32 s0, exec_lo, s11
	s_or_b32 s9, s0, s9
	s_delay_alu instid0(SALU_CYCLE_1)
	s_and_not1_b32 exec_lo, exec_lo, s9
	s_cbranch_execz .LBB1_36
.LBB1_27:                               ;   Parent Loop BB1_11 Depth=1
                                        ; =>  This Inner Loop Header: Depth=2
	v_ashrrev_i32_e32 v7, 31, v6
	s_mov_b32 s11, exec_lo
	s_delay_alu instid0(VALU_DEP_1) | instskip(NEXT) | instid1(VALU_DEP_1)
	v_lshlrev_b64 v[11:12], 2, v[6:7]
	v_add_co_u32 v11, vcc_lo, s18, v11
	s_delay_alu instid0(VALU_DEP_2) | instskip(SKIP_3) | instid1(VALU_DEP_1)
	v_add_co_ci_u32_e32 v12, vcc_lo, s19, v12, vcc_lo
	global_load_b32 v5, v[11:12], off
	s_waitcnt vmcnt(0)
	v_subrev_nc_u32_e32 v5, s5, v5
	v_sub_nc_u32_e32 v7, v5, v24
	s_delay_alu instid0(VALU_DEP_1)
	v_cmp_gt_u32_e64 s0, 64, v7
	v_cmpx_lt_u32_e32 63, v7
	s_xor_b32 s11, exec_lo, s11
; %bb.28:                               ;   in Loop: Header=BB1_27 Depth=2
	v_min_i32_e32 v31, v5, v31
                                        ; implicit-def: $vgpr7
; %bb.29:                               ;   in Loop: Header=BB1_27 Depth=2
	s_and_not1_saveexec_b32 s11, s11
	s_cbranch_execz .LBB1_34
; %bb.30:                               ;   in Loop: Header=BB1_27 Depth=2
	v_lshlrev_b64 v[11:12], 2, v[9:10]
	v_lshlrev_b32_e32 v5, 4, v7
	v_add_nc_u32_e32 v7, v16, v7
	s_delay_alu instid0(VALU_DEP_2) | instskip(NEXT) | instid1(VALU_DEP_4)
	v_add_nc_u32_e32 v5, v15, v5
	v_add_co_u32 v13, vcc_lo, s16, v11
	v_add_co_ci_u32_e32 v14, vcc_lo, s17, v12, vcc_lo
	ds_load_b64 v[11:12], v5
	s_and_not1_b32 vcc_lo, exec_lo, s1
	global_load_b32 v32, v[13:14], off
	s_waitcnt vmcnt(0) lgkmcnt(0)
	v_fma_f32 v11, s24, v32, v11
	ds_store_b8 v7, v30
	ds_store_b32 v5, v11
	s_cbranch_vccnz .LBB1_32
; %bb.31:                               ;   in Loop: Header=BB1_27 Depth=2
	global_load_b96 v[32:34], v[13:14], off offset:4
	ds_load_b64 v[35:36], v5 offset:8
	s_waitcnt vmcnt(0)
	v_fma_f32 v7, s24, v33, v12
	s_waitcnt lgkmcnt(0)
	v_fma_f32 v11, s24, v32, v35
	v_fmac_f32_e32 v36, s24, v34
	ds_store_2addr_b32 v5, v7, v11 offset0:1 offset1:2
	ds_store_b32 v5, v36 offset:12
	s_cbranch_execz .LBB1_33
	s_branch .LBB1_34
.LBB1_32:                               ;   in Loop: Header=BB1_27 Depth=2
.LBB1_33:                               ;   in Loop: Header=BB1_27 Depth=2
	global_load_b96 v[32:34], v[13:14], off offset:4
	ds_load_b64 v[13:14], v5 offset:8
	s_waitcnt vmcnt(0)
	v_fmac_f32_e32 v12, s24, v32
	s_waitcnt lgkmcnt(0)
	v_fma_f32 v7, s24, v33, v13
	v_fmac_f32_e32 v14, s24, v34
	ds_store_2addr_b32 v5, v12, v7 offset0:1 offset1:2
	ds_store_b32 v5, v14 offset:12
.LBB1_34:                               ;   in Loop: Header=BB1_27 Depth=2
	s_or_b32 exec_lo, exec_lo, s11
	s_mov_b32 s11, -1
	s_and_saveexec_b32 s25, s0
	s_cbranch_execz .LBB1_26
; %bb.35:                               ;   in Loop: Header=BB1_27 Depth=2
	v_add_nc_u32_e32 v6, 64, v6
	v_add_nc_u32_e32 v9, 0x100, v9
	s_delay_alu instid0(VALU_DEP_2)
	v_cmp_ge_i32_e32 vcc_lo, v6, v18
	s_or_not1_b32 s11, vcc_lo, exec_lo
	s_branch .LBB1_26
.LBB1_36:                               ;   in Loop: Header=BB1_11 Depth=1
	s_or_b32 exec_lo, exec_lo, s9
.LBB1_37:                               ;   in Loop: Header=BB1_11 Depth=1
	s_delay_alu instid0(SALU_CYCLE_1)
	s_or_b32 exec_lo, exec_lo, s8
	s_waitcnt lgkmcnt(0)
	buffer_gl0_inv
	ds_load_u8 v5, v29
	s_mov_b32 s8, exec_lo
	s_waitcnt lgkmcnt(0)
	v_and_b32_e32 v7, 1, v5
	v_cmp_ne_u16_e32 vcc_lo, 0, v5
	s_delay_alu instid0(VALU_DEP_2)
	v_cmpx_eq_u32_e32 1, v7
	s_cbranch_execz .LBB1_10
; %bb.38:                               ;   in Loop: Header=BB1_11 Depth=1
	ds_load_2addr_b32 v[32:33], v22 offset1:3
	v_and_b32_e32 v5, vcc_lo, v8
	s_waitcnt lgkmcnt(0)
	v_dual_mov_b32 v14, v33 :: v_dual_add_nc_u32 v7, s7, v22
	s_delay_alu instid0(VALU_DEP_2) | instskip(SKIP_1) | instid1(VALU_DEP_2)
	v_bcnt_u32_b32 v5, v5, 0
	v_mov_b32_e32 v11, v32
	v_add3_u32 v34, v19, v5, -1
	v_add_nc_u32_e32 v5, s6, v22
	ds_load_b32 v12, v5
	ds_load_b32 v13, v7
	v_ashrrev_i32_e32 v35, 31, v34
	v_lshlrev_b32_e32 v9, 2, v34
	v_add_nc_u32_e32 v5, v20, v24
	s_delay_alu instid0(VALU_DEP_3) | instskip(NEXT) | instid1(VALU_DEP_3)
	v_lshlrev_b64 v[34:35], 2, v[34:35]
	v_lshlrev_b64 v[36:37], 2, v[9:10]
	s_delay_alu instid0(VALU_DEP_2) | instskip(NEXT) | instid1(VALU_DEP_1)
	v_add_co_u32 v32, s0, s20, v34
	v_add_co_ci_u32_e64 v33, s0, s21, v35, s0
	s_delay_alu instid0(VALU_DEP_3) | instskip(NEXT) | instid1(VALU_DEP_1)
	v_add_co_u32 v34, s0, s22, v36
	v_add_co_ci_u32_e64 v35, s0, s23, v37, s0
	global_store_b32 v[32:33], v5, off
	s_waitcnt lgkmcnt(0)
	global_store_b128 v[34:35], v[11:14], off
	s_branch .LBB1_10
.LBB1_39:
	s_nop 0
	s_sendmsg sendmsg(MSG_DEALLOC_VGPRS)
	s_endpgm
	.section	.rodata,"a",@progbits
	.p2align	6, 0x0
	.amdhsa_kernel _ZN9rocsparseL39bsrgeam_wf_per_row_multipass_2_3_kernelILj256ELj2ELj64EfEEv20rocsparse_direction_iiiNS_24const_host_device_scalarIT2_EEPKiS6_PKS3_S4_S6_S6_S8_S6_PiPS3_21rocsparse_index_base_SB_SB_b
		.amdhsa_group_segment_fixed_size 4352
		.amdhsa_private_segment_fixed_size 0
		.amdhsa_kernarg_size 120
		.amdhsa_user_sgpr_count 15
		.amdhsa_user_sgpr_dispatch_ptr 0
		.amdhsa_user_sgpr_queue_ptr 0
		.amdhsa_user_sgpr_kernarg_segment_ptr 1
		.amdhsa_user_sgpr_dispatch_id 0
		.amdhsa_user_sgpr_private_segment_size 0
		.amdhsa_wavefront_size32 1
		.amdhsa_uses_dynamic_stack 0
		.amdhsa_enable_private_segment 0
		.amdhsa_system_sgpr_workgroup_id_x 1
		.amdhsa_system_sgpr_workgroup_id_y 0
		.amdhsa_system_sgpr_workgroup_id_z 0
		.amdhsa_system_sgpr_workgroup_info 0
		.amdhsa_system_vgpr_workitem_id 0
		.amdhsa_next_free_vgpr 38
		.amdhsa_next_free_sgpr 26
		.amdhsa_reserve_vcc 1
		.amdhsa_float_round_mode_32 0
		.amdhsa_float_round_mode_16_64 0
		.amdhsa_float_denorm_mode_32 3
		.amdhsa_float_denorm_mode_16_64 3
		.amdhsa_dx10_clamp 1
		.amdhsa_ieee_mode 1
		.amdhsa_fp16_overflow 0
		.amdhsa_workgroup_processor_mode 1
		.amdhsa_memory_ordered 1
		.amdhsa_forward_progress 0
		.amdhsa_shared_vgpr_count 0
		.amdhsa_exception_fp_ieee_invalid_op 0
		.amdhsa_exception_fp_denorm_src 0
		.amdhsa_exception_fp_ieee_div_zero 0
		.amdhsa_exception_fp_ieee_overflow 0
		.amdhsa_exception_fp_ieee_underflow 0
		.amdhsa_exception_fp_ieee_inexact 0
		.amdhsa_exception_int_div_zero 0
	.end_amdhsa_kernel
	.section	.text._ZN9rocsparseL39bsrgeam_wf_per_row_multipass_2_3_kernelILj256ELj2ELj64EfEEv20rocsparse_direction_iiiNS_24const_host_device_scalarIT2_EEPKiS6_PKS3_S4_S6_S6_S8_S6_PiPS3_21rocsparse_index_base_SB_SB_b,"axG",@progbits,_ZN9rocsparseL39bsrgeam_wf_per_row_multipass_2_3_kernelILj256ELj2ELj64EfEEv20rocsparse_direction_iiiNS_24const_host_device_scalarIT2_EEPKiS6_PKS3_S4_S6_S6_S8_S6_PiPS3_21rocsparse_index_base_SB_SB_b,comdat
.Lfunc_end1:
	.size	_ZN9rocsparseL39bsrgeam_wf_per_row_multipass_2_3_kernelILj256ELj2ELj64EfEEv20rocsparse_direction_iiiNS_24const_host_device_scalarIT2_EEPKiS6_PKS3_S4_S6_S6_S8_S6_PiPS3_21rocsparse_index_base_SB_SB_b, .Lfunc_end1-_ZN9rocsparseL39bsrgeam_wf_per_row_multipass_2_3_kernelILj256ELj2ELj64EfEEv20rocsparse_direction_iiiNS_24const_host_device_scalarIT2_EEPKiS6_PKS3_S4_S6_S6_S8_S6_PiPS3_21rocsparse_index_base_SB_SB_b
                                        ; -- End function
	.section	.AMDGPU.csdata,"",@progbits
; Kernel info:
; codeLenInByte = 1816
; NumSgprs: 28
; NumVgprs: 38
; ScratchSize: 0
; MemoryBound: 0
; FloatMode: 240
; IeeeMode: 1
; LDSByteSize: 4352 bytes/workgroup (compile time only)
; SGPRBlocks: 3
; VGPRBlocks: 4
; NumSGPRsForWavesPerEU: 28
; NumVGPRsForWavesPerEU: 38
; Occupancy: 16
; WaveLimiterHint : 1
; COMPUTE_PGM_RSRC2:SCRATCH_EN: 0
; COMPUTE_PGM_RSRC2:USER_SGPR: 15
; COMPUTE_PGM_RSRC2:TRAP_HANDLER: 0
; COMPUTE_PGM_RSRC2:TGID_X_EN: 1
; COMPUTE_PGM_RSRC2:TGID_Y_EN: 0
; COMPUTE_PGM_RSRC2:TGID_Z_EN: 0
; COMPUTE_PGM_RSRC2:TIDIG_COMP_CNT: 0
	.section	.text._ZN9rocsparseL39bsrgeam_wf_per_row_multipass_2_3_kernelILj256ELj3ELj32EfEEv20rocsparse_direction_iiiNS_24const_host_device_scalarIT2_EEPKiS6_PKS3_S4_S6_S6_S8_S6_PiPS3_21rocsparse_index_base_SB_SB_b,"axG",@progbits,_ZN9rocsparseL39bsrgeam_wf_per_row_multipass_2_3_kernelILj256ELj3ELj32EfEEv20rocsparse_direction_iiiNS_24const_host_device_scalarIT2_EEPKiS6_PKS3_S4_S6_S6_S8_S6_PiPS3_21rocsparse_index_base_SB_SB_b,comdat
	.globl	_ZN9rocsparseL39bsrgeam_wf_per_row_multipass_2_3_kernelILj256ELj3ELj32EfEEv20rocsparse_direction_iiiNS_24const_host_device_scalarIT2_EEPKiS6_PKS3_S4_S6_S6_S8_S6_PiPS3_21rocsparse_index_base_SB_SB_b ; -- Begin function _ZN9rocsparseL39bsrgeam_wf_per_row_multipass_2_3_kernelILj256ELj3ELj32EfEEv20rocsparse_direction_iiiNS_24const_host_device_scalarIT2_EEPKiS6_PKS3_S4_S6_S6_S8_S6_PiPS3_21rocsparse_index_base_SB_SB_b
	.p2align	8
	.type	_ZN9rocsparseL39bsrgeam_wf_per_row_multipass_2_3_kernelILj256ELj3ELj32EfEEv20rocsparse_direction_iiiNS_24const_host_device_scalarIT2_EEPKiS6_PKS3_S4_S6_S6_S8_S6_PiPS3_21rocsparse_index_base_SB_SB_b,@function
_ZN9rocsparseL39bsrgeam_wf_per_row_multipass_2_3_kernelILj256ELj3ELj32EfEEv20rocsparse_direction_iiiNS_24const_host_device_scalarIT2_EEPKiS6_PKS3_S4_S6_S6_S8_S6_PiPS3_21rocsparse_index_base_SB_SB_b: ; @_ZN9rocsparseL39bsrgeam_wf_per_row_multipass_2_3_kernelILj256ELj3ELj32EfEEv20rocsparse_direction_iiiNS_24const_host_device_scalarIT2_EEPKiS6_PKS3_S4_S6_S6_S8_S6_PiPS3_21rocsparse_index_base_SB_SB_b
; %bb.0:
	s_clause 0x2
	s_load_b128 s[4:7], s[0:1], 0x68
	s_load_b64 s[2:3], s[0:1], 0x10
	s_load_b64 s[24:25], s[0:1], 0x30
	s_waitcnt lgkmcnt(0)
	s_bitcmp1_b32 s7, 0
	s_cselect_b32 s7, -1, 0
	s_delay_alu instid0(SALU_CYCLE_1)
	s_and_b32 vcc_lo, exec_lo, s7
	s_xor_b32 s7, s7, -1
	s_cbranch_vccnz .LBB2_2
; %bb.1:
	s_load_b32 s2, s[2:3], 0x0
.LBB2_2:
	s_and_not1_b32 vcc_lo, exec_lo, s7
	s_cbranch_vccnz .LBB2_4
; %bb.3:
	s_load_b32 s24, s[24:25], 0x0
.LBB2_4:
	s_load_b128 s[8:11], s[0:1], 0x0
	v_lshrrev_b32_e32 v7, 5, v0
	s_lshl_b32 s3, s15, 3
	s_delay_alu instid0(VALU_DEP_1) | instid1(SALU_CYCLE_1)
	v_and_or_b32 v1, 0x7fffff8, s3, v7
	s_mov_b32 s3, exec_lo
	s_waitcnt lgkmcnt(0)
	s_delay_alu instid0(VALU_DEP_1)
	v_cmpx_gt_i32_e64 s9, v1
	s_cbranch_execz .LBB2_39
; %bb.5:
	s_clause 0x2
	s_load_b128 s[12:15], s[0:1], 0x18
	s_load_b128 s[16:19], s[0:1], 0x38
	s_load_b64 s[20:21], s[0:1], 0x50
	v_lshlrev_b32_e32 v1, 2, v1
	s_waitcnt lgkmcnt(0)
	s_clause 0x2
	global_load_b64 v[5:6], v1, s[12:13]
	global_load_b64 v[3:4], v1, s[16:17]
	global_load_b32 v8, v1, s[20:21]
	s_waitcnt vmcnt(2)
	v_subrev_nc_u32_e32 v1, s4, v5
	v_cmp_lt_i32_e32 vcc_lo, v5, v6
	v_mov_b32_e32 v5, s10
	s_and_saveexec_b32 s3, vcc_lo
	s_cbranch_execz .LBB2_7
; %bb.6:
	v_ashrrev_i32_e32 v2, 31, v1
	s_delay_alu instid0(VALU_DEP_1) | instskip(NEXT) | instid1(VALU_DEP_1)
	v_lshlrev_b64 v[9:10], 2, v[1:2]
	v_add_co_u32 v9, vcc_lo, s14, v9
	s_delay_alu instid0(VALU_DEP_2)
	v_add_co_ci_u32_e32 v10, vcc_lo, s15, v10, vcc_lo
	global_load_b32 v2, v[9:10], off
	s_waitcnt vmcnt(0)
	v_subrev_nc_u32_e32 v5, s4, v2
.LBB2_7:
	s_or_b32 exec_lo, exec_lo, s3
	s_clause 0x2
	s_load_b128 s[20:23], s[0:1], 0x58
	s_load_b64 s[12:13], s[0:1], 0x28
	s_load_b64 s[16:17], s[0:1], 0x48
	s_waitcnt vmcnt(1)
	v_subrev_nc_u32_e32 v2, s5, v3
	v_cmp_lt_i32_e32 vcc_lo, v3, v4
	v_mov_b32_e32 v3, s10
	s_and_saveexec_b32 s0, vcc_lo
	s_cbranch_execz .LBB2_9
; %bb.8:
	v_ashrrev_i32_e32 v3, 31, v2
	s_delay_alu instid0(VALU_DEP_1) | instskip(NEXT) | instid1(VALU_DEP_1)
	v_lshlrev_b64 v[9:10], 2, v[2:3]
	v_add_co_u32 v9, vcc_lo, s18, v9
	s_delay_alu instid0(VALU_DEP_2)
	v_add_co_ci_u32_e32 v10, vcc_lo, s19, v10, vcc_lo
	global_load_b32 v3, v[9:10], off
	s_waitcnt vmcnt(0)
	v_subrev_nc_u32_e32 v3, s5, v3
.LBB2_9:
	s_or_b32 exec_lo, exec_lo, s0
	v_subrev_nc_u32_e32 v20, s4, v6
	v_and_b32_e32 v6, 31, v0
	s_movk_i32 s0, 0xe0
	v_subrev_nc_u32_e32 v23, s5, v4
	v_and_or_b32 v21, v0, s0, 0x2400
	v_min_i32_e32 v36, v3, v5
	v_add_nc_u32_e32 v0, v1, v6
	v_mbcnt_lo_u32_b32 v1, -1, 0
	v_xor_b32_e32 v3, 31, v6
	v_mul_u32_u24_e32 v7, 0x120, v7
	s_waitcnt vmcnt(0)
	v_subrev_nc_u32_e32 v24, s6, v8
	s_cmp_lg_u32 s8, 0
	v_xor_b32_e32 v4, 16, v1
	v_lshrrev_b32_e64 v26, v3, -1
	v_xor_b32_e32 v3, 8, v1
	v_xor_b32_e32 v5, 4, v1
	;; [unrolled: 1-line block ×3, first 2 shown]
	v_cmp_gt_i32_e32 vcc_lo, 32, v4
	s_cselect_b32 s3, -1, 0
	s_cmp_eq_u32 s8, 0
	s_mov_b32 s1, 0
	s_cselect_b32 s7, 8, 24
	v_cndmask_b32_e32 v4, v1, v4, vcc_lo
	v_cmp_gt_i32_e32 vcc_lo, 32, v3
	s_cselect_b32 s8, 12, 4
	s_cselect_b32 s9, 20, 28
	;; [unrolled: 1-line block ×4, first 2 shown]
	v_cndmask_b32_e32 v3, v1, v3, vcc_lo
	v_cmp_gt_i32_e32 vcc_lo, 32, v5
	v_lshlrev_b32_e32 v22, 2, v7
	v_xor_b32_e32 v7, 2, v1
	v_add_nc_u32_e32 v27, s6, v6
	v_lshlrev_b32_e32 v29, 2, v3
	v_cndmask_b32_e32 v5, v1, v5, vcc_lo
	v_mad_u32_u24 v25, v6, 36, v22
	v_cmp_gt_i32_e32 vcc_lo, 32, v7
	v_add_nc_u32_e32 v2, v2, v6
	v_lshlrev_b32_e32 v28, 2, v4
	v_add_nc_u32_e32 v33, v21, v6
	v_dual_cndmask_b32 v7, v1, v7 :: v_dual_lshlrev_b32 v30, 2, v5
	v_cmp_gt_i32_e32 vcc_lo, 32, v8
	v_mov_b32_e32 v4, 0
	v_mov_b32_e32 v34, 1
	s_cselect_b32 s6, 4, 12
	v_lshlrev_b32_e32 v31, 2, v7
	v_cndmask_b32_e32 v1, v1, v8, vcc_lo
	s_delay_alu instid0(VALU_DEP_1)
	v_lshlrev_b32_e32 v32, 2, v1
	s_branch .LBB2_11
.LBB2_10:                               ;   in Loop: Header=BB2_11 Depth=1
	s_or_b32 exec_lo, exec_lo, s26
	ds_bpermute_b32 v1, v28, v35
	s_bcnt1_i32_b32 s26, vcc_lo
	s_delay_alu instid0(SALU_CYCLE_1)
	v_add_nc_u32_e32 v24, s26, v24
	s_waitcnt lgkmcnt(0)
	v_min_i32_e32 v1, v1, v35
	ds_bpermute_b32 v3, v29, v1
	s_waitcnt lgkmcnt(0)
	v_min_i32_e32 v1, v3, v1
	ds_bpermute_b32 v3, v30, v1
	s_waitcnt lgkmcnt(0)
	v_min_i32_e32 v1, v3, v1
	ds_bpermute_b32 v3, v31, v1
	s_waitcnt lgkmcnt(0)
	v_min_i32_e32 v1, v3, v1
	ds_bpermute_b32 v3, v32, v1
	s_waitcnt lgkmcnt(0)
	v_min_i32_e32 v36, v3, v1
	s_delay_alu instid0(VALU_DEP_1) | instskip(NEXT) | instid1(VALU_DEP_1)
	v_cmp_le_i32_e64 s0, s10, v36
	s_or_b32 s1, s0, s1
	s_delay_alu instid0(SALU_CYCLE_1)
	s_and_not1_b32 exec_lo, exec_lo, s1
	s_cbranch_execz .LBB2_39
.LBB2_11:                               ; =>This Loop Header: Depth=1
                                        ;     Child Loop BB2_14 Depth 2
                                        ;     Child Loop BB2_27 Depth 2
	v_mov_b32_e32 v35, s10
	s_mov_b32 s26, exec_lo
	ds_store_2addr_b32 v25, v4, v4 offset1:1
	ds_store_2addr_b32 v25, v4, v4 offset0:2 offset1:3
	ds_store_2addr_b32 v25, v4, v4 offset0:4 offset1:5
	;; [unrolled: 1-line block ×3, first 2 shown]
	ds_store_b8 v33, v4
	ds_store_b32 v25, v4 offset:32
	s_waitcnt lgkmcnt(0)
	buffer_gl0_inv
	v_cmpx_lt_i32_e64 v0, v20
	s_cbranch_execz .LBB2_24
; %bb.12:                               ;   in Loop: Header=BB2_11 Depth=1
	v_mad_u64_u32 v[5:6], null, v0, 9, 8
	v_mov_b32_e32 v35, s10
	s_mov_b32 s27, 0
	s_branch .LBB2_14
.LBB2_13:                               ;   in Loop: Header=BB2_14 Depth=2
	s_or_b32 exec_lo, exec_lo, s29
	s_delay_alu instid0(SALU_CYCLE_1) | instskip(NEXT) | instid1(SALU_CYCLE_1)
	s_and_b32 s0, exec_lo, s28
	s_or_b32 s27, s0, s27
	s_delay_alu instid0(SALU_CYCLE_1)
	s_and_not1_b32 exec_lo, exec_lo, s27
	s_cbranch_execz .LBB2_23
.LBB2_14:                               ;   Parent Loop BB2_11 Depth=1
                                        ; =>  This Inner Loop Header: Depth=2
	v_ashrrev_i32_e32 v1, 31, v0
	s_mov_b32 s28, exec_lo
	s_delay_alu instid0(VALU_DEP_1) | instskip(NEXT) | instid1(VALU_DEP_1)
	v_lshlrev_b64 v[6:7], 2, v[0:1]
	v_add_co_u32 v6, vcc_lo, s14, v6
	s_delay_alu instid0(VALU_DEP_2) | instskip(SKIP_3) | instid1(VALU_DEP_1)
	v_add_co_ci_u32_e32 v7, vcc_lo, s15, v7, vcc_lo
	global_load_b32 v1, v[6:7], off
	s_waitcnt vmcnt(0)
	v_subrev_nc_u32_e32 v3, s4, v1
	v_sub_nc_u32_e32 v1, v3, v36
	s_delay_alu instid0(VALU_DEP_1)
	v_cmp_gt_u32_e64 s0, 32, v1
	v_cmpx_lt_u32_e32 31, v1
	s_xor_b32 s28, exec_lo, s28
; %bb.15:                               ;   in Loop: Header=BB2_14 Depth=2
	v_min_i32_e32 v35, v3, v35
                                        ; implicit-def: $vgpr1
; %bb.16:                               ;   in Loop: Header=BB2_14 Depth=2
	s_and_not1_saveexec_b32 s28, s28
	s_cbranch_execz .LBB2_21
; %bb.17:                               ;   in Loop: Header=BB2_14 Depth=2
	v_add_nc_u32_e32 v3, -8, v5
	v_mul_lo_u32 v10, v1, 36
	v_add_nc_u32_e32 v12, v21, v1
	v_add_nc_u32_e32 v11, -2, v5
	v_add_nc_u32_e32 v17, -7, v5
	v_lshlrev_b64 v[6:7], 2, v[3:4]
	v_add_nc_u32_e32 v3, -4, v5
	v_add_nc_u32_e32 v9, -1, v5
	;; [unrolled: 1-line block ×3, first 2 shown]
	v_add_nc_u32_e32 v1, v22, v10
	v_add_nc_u32_e32 v13, -3, v5
	v_add_co_u32 v6, vcc_lo, s12, v6
	v_add_co_ci_u32_e32 v7, vcc_lo, s13, v7, vcc_lo
	global_load_b32 v6, v[6:7], off
	v_lshlrev_b64 v[7:8], 2, v[3:4]
	v_add_nc_u32_e32 v3, -5, v5
	s_delay_alu instid0(VALU_DEP_2) | instskip(NEXT) | instid1(VALU_DEP_3)
	v_add_co_u32 v7, vcc_lo, s12, v7
	v_add_co_ci_u32_e32 v8, vcc_lo, s13, v8, vcc_lo
	s_and_not1_b32 vcc_lo, exec_lo, s3
	s_waitcnt vmcnt(0)
	v_mul_f32_e32 v6, s2, v6
	ds_store_b8 v12, v34
	ds_store_b32 v1, v6
	s_cbranch_vccnz .LBB2_19
; %bb.18:                               ;   in Loop: Header=BB2_14 Depth=2
	v_mov_b32_e32 v12, v4
	v_lshlrev_b64 v[37:38], 2, v[3:4]
	v_mov_b32_e32 v18, v4
	v_mov_b32_e32 v10, v4
	;; [unrolled: 1-line block ×3, first 2 shown]
	v_lshlrev_b64 v[39:40], 2, v[11:12]
	v_mov_b32_e32 v14, v4
	v_lshlrev_b64 v[18:19], 2, v[17:18]
	v_add_co_u32 v37, vcc_lo, s12, v37
	v_add_co_ci_u32_e32 v38, vcc_lo, s13, v38, vcc_lo
	v_add_co_u32 v39, vcc_lo, s12, v39
	v_lshlrev_b64 v[41:42], 2, v[9:10]
	v_add_co_ci_u32_e32 v40, vcc_lo, s13, v40, vcc_lo
	v_add_co_u32 v18, vcc_lo, s12, v18
	v_lshlrev_b64 v[43:44], 2, v[15:16]
	v_mov_b32_e32 v6, v4
	v_add_co_ci_u32_e32 v19, vcc_lo, s13, v19, vcc_lo
	v_add_co_u32 v41, vcc_lo, s12, v41
	v_lshlrev_b64 v[45:46], 2, v[13:14]
	v_add_co_ci_u32_e32 v42, vcc_lo, s13, v42, vcc_lo
	v_add_co_u32 v43, vcc_lo, s12, v43
	v_lshlrev_b64 v[47:48], 2, v[5:6]
	v_add_co_ci_u32_e32 v44, vcc_lo, s13, v44, vcc_lo
	v_add_co_u32 v45, vcc_lo, s12, v45
	v_add_co_ci_u32_e32 v46, vcc_lo, s13, v46, vcc_lo
	s_delay_alu instid0(VALU_DEP_4)
	v_add_co_u32 v47, vcc_lo, s12, v47
	v_add_co_ci_u32_e32 v48, vcc_lo, s13, v48, vcc_lo
	s_clause 0x7
	global_load_b32 v6, v[37:38], off
	global_load_b32 v10, v[39:40], off
	;; [unrolled: 1-line block ×8, first 2 shown]
	s_waitcnt vmcnt(7)
	v_mul_f32_e32 v6, s2, v6
	s_waitcnt vmcnt(6)
	v_mul_f32_e32 v10, s2, v10
	;; [unrolled: 2-line block ×5, first 2 shown]
	s_waitcnt vmcnt(1)
	v_dual_mul_f32 v18, s2, v18 :: v_dual_mul_f32 v19, s2, v19
	s_waitcnt vmcnt(0)
	v_mul_f32_e32 v37, s2, v37
	ds_store_2addr_b32 v1, v6, v10 offset0:1 offset1:2
	ds_store_2addr_b32 v1, v12, v37 offset0:3 offset1:4
	;; [unrolled: 1-line block ×4, first 2 shown]
	s_cbranch_execz .LBB2_20
	s_branch .LBB2_21
.LBB2_19:                               ;   in Loop: Header=BB2_14 Depth=2
.LBB2_20:                               ;   in Loop: Header=BB2_14 Depth=2
	v_mov_b32_e32 v18, v4
	v_mov_b32_e32 v16, v4
	;; [unrolled: 1-line block ×3, first 2 shown]
	v_lshlrev_b64 v[37:38], 2, v[3:4]
	v_mov_b32_e32 v12, v4
	v_lshlrev_b64 v[17:18], 2, v[17:18]
	v_lshlrev_b64 v[15:16], 2, v[15:16]
	;; [unrolled: 1-line block ×3, first 2 shown]
	v_mov_b32_e32 v10, v4
	v_lshlrev_b64 v[11:12], 2, v[11:12]
	v_mov_b32_e32 v6, v4
	v_add_co_u32 v17, vcc_lo, s12, v17
	v_add_co_ci_u32_e32 v18, vcc_lo, s13, v18, vcc_lo
	v_add_co_u32 v15, vcc_lo, s12, v15
	v_add_co_ci_u32_e32 v16, vcc_lo, s13, v16, vcc_lo
	;; [unrolled: 2-line block ×3, first 2 shown]
	v_add_co_u32 v13, vcc_lo, s12, v13
	v_lshlrev_b64 v[9:10], 2, v[9:10]
	v_add_co_ci_u32_e32 v14, vcc_lo, s13, v14, vcc_lo
	v_add_co_u32 v11, vcc_lo, s12, v11
	v_lshlrev_b64 v[39:40], 2, v[5:6]
	v_add_co_ci_u32_e32 v12, vcc_lo, s13, v12, vcc_lo
	v_add_co_u32 v9, vcc_lo, s12, v9
	v_add_co_ci_u32_e32 v10, vcc_lo, s13, v10, vcc_lo
	s_delay_alu instid0(VALU_DEP_4)
	v_add_co_u32 v39, vcc_lo, s12, v39
	v_add_co_ci_u32_e32 v40, vcc_lo, s13, v40, vcc_lo
	s_clause 0x7
	global_load_b32 v3, v[17:18], off
	global_load_b32 v6, v[15:16], off
	;; [unrolled: 1-line block ×8, first 2 shown]
	s_waitcnt vmcnt(6)
	v_dual_mul_f32 v3, s2, v3 :: v_dual_mul_f32 v6, s2, v6
	s_waitcnt vmcnt(5)
	v_mul_f32_e32 v8, s2, v15
	s_waitcnt vmcnt(3)
	v_dual_mul_f32 v12, s2, v13 :: v_dual_mul_f32 v11, s2, v11
	s_waitcnt vmcnt(1)
	v_dual_mul_f32 v9, s2, v9 :: v_dual_mul_f32 v10, s2, v10
	s_waitcnt vmcnt(0)
	v_mul_f32_e32 v7, s2, v7
	ds_store_2addr_b32 v1, v3, v6 offset0:1 offset1:2
	ds_store_2addr_b32 v1, v8, v7 offset0:3 offset1:4
	ds_store_2addr_b32 v1, v12, v11 offset0:5 offset1:6
	ds_store_2addr_b32 v1, v9, v10 offset0:7 offset1:8
.LBB2_21:                               ;   in Loop: Header=BB2_14 Depth=2
	s_or_b32 exec_lo, exec_lo, s28
	s_mov_b32 s28, -1
	s_and_saveexec_b32 s29, s0
	s_cbranch_execz .LBB2_13
; %bb.22:                               ;   in Loop: Header=BB2_14 Depth=2
	v_add_nc_u32_e32 v0, 32, v0
	v_add_nc_u32_e32 v5, 0x120, v5
	s_delay_alu instid0(VALU_DEP_2)
	v_cmp_ge_i32_e32 vcc_lo, v0, v20
	s_or_not1_b32 s28, vcc_lo, exec_lo
	s_branch .LBB2_13
.LBB2_23:                               ;   in Loop: Header=BB2_11 Depth=1
	s_or_b32 exec_lo, exec_lo, s27
.LBB2_24:                               ;   in Loop: Header=BB2_11 Depth=1
	s_delay_alu instid0(SALU_CYCLE_1) | instskip(NEXT) | instid1(SALU_CYCLE_1)
	s_or_b32 exec_lo, exec_lo, s26
	s_mov_b32 s26, exec_lo
	s_waitcnt lgkmcnt(0)
	buffer_gl0_inv
	v_cmpx_lt_i32_e64 v2, v23
	s_cbranch_execz .LBB2_37
; %bb.25:                               ;   in Loop: Header=BB2_11 Depth=1
	v_mad_u64_u32 v[5:6], null, v2, 9, 8
	s_mov_b32 s27, 0
	s_branch .LBB2_27
.LBB2_26:                               ;   in Loop: Header=BB2_27 Depth=2
	s_or_b32 exec_lo, exec_lo, s29
	s_delay_alu instid0(SALU_CYCLE_1) | instskip(NEXT) | instid1(SALU_CYCLE_1)
	s_and_b32 s0, exec_lo, s28
	s_or_b32 s27, s0, s27
	s_delay_alu instid0(SALU_CYCLE_1)
	s_and_not1_b32 exec_lo, exec_lo, s27
	s_cbranch_execz .LBB2_36
.LBB2_27:                               ;   Parent Loop BB2_11 Depth=1
                                        ; =>  This Inner Loop Header: Depth=2
	v_ashrrev_i32_e32 v3, 31, v2
	s_mov_b32 s28, exec_lo
	s_delay_alu instid0(VALU_DEP_1) | instskip(NEXT) | instid1(VALU_DEP_1)
	v_lshlrev_b64 v[6:7], 2, v[2:3]
	v_add_co_u32 v6, vcc_lo, s18, v6
	s_delay_alu instid0(VALU_DEP_2) | instskip(SKIP_3) | instid1(VALU_DEP_1)
	v_add_co_ci_u32_e32 v7, vcc_lo, s19, v7, vcc_lo
	global_load_b32 v1, v[6:7], off
	s_waitcnt vmcnt(0)
	v_subrev_nc_u32_e32 v1, s5, v1
	v_sub_nc_u32_e32 v8, v1, v36
	s_delay_alu instid0(VALU_DEP_1)
	v_cmp_gt_u32_e64 s0, 32, v8
	v_cmpx_lt_u32_e32 31, v8
	s_xor_b32 s28, exec_lo, s28
; %bb.28:                               ;   in Loop: Header=BB2_27 Depth=2
	v_min_i32_e32 v35, v1, v35
                                        ; implicit-def: $vgpr8
; %bb.29:                               ;   in Loop: Header=BB2_27 Depth=2
	s_and_not1_saveexec_b32 s28, s28
	s_cbranch_execz .LBB2_34
; %bb.30:                               ;   in Loop: Header=BB2_27 Depth=2
	v_add_nc_u32_e32 v3, -8, v5
	v_mul_lo_u32 v1, v8, 36
	v_add_nc_u32_e32 v11, v21, v8
	v_add_nc_u32_e32 v10, -2, v5
	v_add_nc_u32_e32 v18, -7, v5
	v_lshlrev_b64 v[6:7], 2, v[3:4]
	v_add_nc_u32_e32 v3, -4, v5
	v_add_nc_u32_e32 v8, -1, v5
	;; [unrolled: 1-line block ×3, first 2 shown]
	v_add_nc_u32_e32 v1, v22, v1
	v_add_nc_u32_e32 v14, -3, v5
	v_add_co_u32 v6, vcc_lo, s16, v6
	v_add_co_ci_u32_e32 v7, vcc_lo, s17, v7, vcc_lo
	v_lshlrev_b64 v[12:13], 2, v[3:4]
	v_add_nc_u32_e32 v3, -5, v5
	global_load_b32 v9, v[6:7], off
	ds_load_2addr_b32 v[6:7], v1 offset1:1
	v_add_co_u32 v12, vcc_lo, s16, v12
	v_add_co_ci_u32_e32 v13, vcc_lo, s17, v13, vcc_lo
	s_and_not1_b32 vcc_lo, exec_lo, s3
	s_waitcnt vmcnt(0) lgkmcnt(0)
	v_fma_f32 v6, s24, v9, v6
	ds_store_b8 v11, v34
	ds_store_b32 v1, v6
	s_cbranch_vccnz .LBB2_32
; %bb.31:                               ;   in Loop: Header=BB2_27 Depth=2
	v_mov_b32_e32 v11, v4
	v_lshlrev_b64 v[37:38], 2, v[3:4]
	v_mov_b32_e32 v19, v4
	v_mov_b32_e32 v9, v4
	;; [unrolled: 1-line block ×3, first 2 shown]
	v_lshlrev_b64 v[39:40], 2, v[10:11]
	v_mov_b32_e32 v15, v4
	v_lshlrev_b64 v[41:42], 2, v[18:19]
	v_add_co_u32 v37, vcc_lo, s16, v37
	v_add_co_ci_u32_e32 v38, vcc_lo, s17, v38, vcc_lo
	v_add_co_u32 v39, vcc_lo, s16, v39
	v_lshlrev_b64 v[43:44], 2, v[8:9]
	v_add_co_ci_u32_e32 v40, vcc_lo, s17, v40, vcc_lo
	v_add_co_u32 v41, vcc_lo, s16, v41
	v_lshlrev_b64 v[45:46], 2, v[16:17]
	v_mov_b32_e32 v6, v4
	v_add_co_ci_u32_e32 v42, vcc_lo, s17, v42, vcc_lo
	v_add_co_u32 v43, vcc_lo, s16, v43
	v_lshlrev_b64 v[47:48], 2, v[14:15]
	v_add_co_ci_u32_e32 v44, vcc_lo, s17, v44, vcc_lo
	v_add_co_u32 v45, vcc_lo, s16, v45
	v_lshlrev_b64 v[49:50], 2, v[5:6]
	v_add_co_ci_u32_e32 v46, vcc_lo, s17, v46, vcc_lo
	v_add_co_u32 v47, vcc_lo, s16, v47
	v_add_co_ci_u32_e32 v48, vcc_lo, s17, v48, vcc_lo
	global_load_b32 v9, v[12:13], off
	v_add_co_u32 v49, vcc_lo, s16, v49
	v_add_co_ci_u32_e32 v50, vcc_lo, s17, v50, vcc_lo
	s_clause 0x6
	global_load_b32 v6, v[37:38], off
	global_load_b32 v11, v[39:40], off
	;; [unrolled: 1-line block ×7, first 2 shown]
	ds_load_2addr_b32 v[37:38], v1 offset0:4 offset1:5
	ds_load_2addr_b32 v[39:40], v1 offset0:2 offset1:3
	;; [unrolled: 1-line block ×3, first 2 shown]
	ds_load_b32 v45, v1 offset:32
	s_waitcnt vmcnt(6)
	v_fma_f32 v6, s24, v6, v7
	s_waitcnt vmcnt(5) lgkmcnt(2)
	v_fma_f32 v11, s24, v11, v39
	v_fma_f32 v9, s24, v9, v37
	s_waitcnt vmcnt(4)
	v_fmac_f32_e32 v40, s24, v15
	s_waitcnt vmcnt(3)
	v_fmac_f32_e32 v38, s24, v17
	s_waitcnt vmcnt(2) lgkmcnt(1)
	v_fma_f32 v15, s24, v19, v41
	s_waitcnt vmcnt(0) lgkmcnt(0)
	v_dual_fmac_f32 v45, s24, v44 :: v_dual_fmac_f32 v42, s24, v43
	ds_store_2addr_b32 v1, v6, v11 offset0:1 offset1:2
	ds_store_2addr_b32 v1, v40, v9 offset0:3 offset1:4
	;; [unrolled: 1-line block ×4, first 2 shown]
	s_cbranch_execz .LBB2_33
	s_branch .LBB2_34
.LBB2_32:                               ;   in Loop: Header=BB2_27 Depth=2
.LBB2_33:                               ;   in Loop: Header=BB2_27 Depth=2
	v_mov_b32_e32 v19, v4
	v_mov_b32_e32 v17, v4
	v_mov_b32_e32 v15, v4
	v_lshlrev_b64 v[37:38], 2, v[3:4]
	v_mov_b32_e32 v11, v4
	v_lshlrev_b64 v[18:19], 2, v[18:19]
	v_lshlrev_b64 v[16:17], 2, v[16:17]
	;; [unrolled: 1-line block ×3, first 2 shown]
	v_mov_b32_e32 v9, v4
	v_lshlrev_b64 v[10:11], 2, v[10:11]
	v_mov_b32_e32 v6, v4
	v_add_co_u32 v18, vcc_lo, s16, v18
	v_add_co_ci_u32_e32 v19, vcc_lo, s17, v19, vcc_lo
	v_add_co_u32 v16, vcc_lo, s16, v16
	v_add_co_ci_u32_e32 v17, vcc_lo, s17, v17, vcc_lo
	;; [unrolled: 2-line block ×3, first 2 shown]
	global_load_b32 v3, v[12:13], off
	v_add_co_u32 v12, vcc_lo, s16, v14
	v_lshlrev_b64 v[8:9], 2, v[8:9]
	v_add_co_ci_u32_e32 v13, vcc_lo, s17, v15, vcc_lo
	v_add_co_u32 v10, vcc_lo, s16, v10
	v_lshlrev_b64 v[14:15], 2, v[5:6]
	v_add_co_ci_u32_e32 v11, vcc_lo, s17, v11, vcc_lo
	v_add_co_u32 v8, vcc_lo, s16, v8
	v_add_co_ci_u32_e32 v9, vcc_lo, s17, v9, vcc_lo
	s_delay_alu instid0(VALU_DEP_4)
	v_add_co_u32 v14, vcc_lo, s16, v14
	v_add_co_ci_u32_e32 v15, vcc_lo, s17, v15, vcc_lo
	s_clause 0x6
	global_load_b32 v6, v[18:19], off
	global_load_b32 v16, v[16:17], off
	;; [unrolled: 1-line block ×7, first 2 shown]
	ds_load_2addr_b32 v[8:9], v1 offset0:4 offset1:5
	ds_load_2addr_b32 v[10:11], v1 offset0:2 offset1:3
	;; [unrolled: 1-line block ×3, first 2 shown]
	ds_load_b32 v15, v1 offset:32
	s_waitcnt vmcnt(7) lgkmcnt(3)
	v_fma_f32 v3, s24, v3, v8
	s_waitcnt vmcnt(6)
	v_fmac_f32_e32 v7, s24, v6
	s_waitcnt vmcnt(5) lgkmcnt(2)
	v_fma_f32 v6, s24, v16, v10
	s_waitcnt vmcnt(4)
	v_fmac_f32_e32 v11, s24, v17
	s_waitcnt vmcnt(3)
	v_fmac_f32_e32 v9, s24, v18
	s_waitcnt vmcnt(2) lgkmcnt(1)
	v_fma_f32 v8, s24, v19, v12
	s_waitcnt vmcnt(1)
	v_fmac_f32_e32 v13, s24, v37
	s_waitcnt vmcnt(0) lgkmcnt(0)
	v_fmac_f32_e32 v15, s24, v14
	ds_store_2addr_b32 v1, v7, v6 offset0:1 offset1:2
	ds_store_2addr_b32 v1, v11, v3 offset0:3 offset1:4
	;; [unrolled: 1-line block ×4, first 2 shown]
.LBB2_34:                               ;   in Loop: Header=BB2_27 Depth=2
	s_or_b32 exec_lo, exec_lo, s28
	s_mov_b32 s28, -1
	s_and_saveexec_b32 s29, s0
	s_cbranch_execz .LBB2_26
; %bb.35:                               ;   in Loop: Header=BB2_27 Depth=2
	v_add_nc_u32_e32 v2, 32, v2
	v_add_nc_u32_e32 v5, 0x120, v5
	s_delay_alu instid0(VALU_DEP_2)
	v_cmp_ge_i32_e32 vcc_lo, v2, v23
	s_or_not1_b32 s28, vcc_lo, exec_lo
	s_branch .LBB2_26
.LBB2_36:                               ;   in Loop: Header=BB2_11 Depth=1
	s_or_b32 exec_lo, exec_lo, s27
.LBB2_37:                               ;   in Loop: Header=BB2_11 Depth=1
	s_delay_alu instid0(SALU_CYCLE_1)
	s_or_b32 exec_lo, exec_lo, s26
	s_waitcnt lgkmcnt(0)
	buffer_gl0_inv
	ds_load_u8 v1, v33
	s_mov_b32 s26, exec_lo
	s_waitcnt lgkmcnt(0)
	v_and_b32_e32 v3, 1, v1
	v_cmp_ne_u16_e32 vcc_lo, 0, v1
	s_delay_alu instid0(VALU_DEP_2)
	v_cmpx_eq_u32_e32 1, v3
	s_cbranch_execz .LBB2_10
; %bb.38:                               ;   in Loop: Header=BB2_11 Depth=1
	v_dual_mov_b32 v10, v4 :: v_dual_and_b32 v1, vcc_lo, v26
	v_add_nc_u32_e32 v19, s7, v25
	v_add_nc_u32_e32 v40, s8, v25
	v_add_nc_u32_e32 v41, s9, v25
	s_delay_alu instid0(VALU_DEP_4)
	v_bcnt_u32_b32 v1, v1, 0
	v_add_nc_u32_e32 v42, s11, v25
	v_add_nc_u32_e32 v43, s25, v25
	ds_load_2addr_b32 v[7:8], v25 offset1:4
	v_mov_b32_e32 v12, v4
	v_add3_u32 v5, v24, v1, -1
	v_dual_mov_b32 v18, v4 :: v_dual_add_nc_u32 v1, v27, v36
	v_mov_b32_e32 v37, v4
	v_mov_b32_e32 v39, v4
	s_delay_alu instid0(VALU_DEP_4) | instskip(SKIP_2) | instid1(VALU_DEP_3)
	v_ashrrev_i32_e32 v6, 31, v5
	v_lshl_add_u32 v3, v5, 3, v5
	v_mov_b32_e32 v14, v4
	v_lshlrev_b64 v[5:6], 2, v[5:6]
	s_delay_alu instid0(VALU_DEP_3)
	v_add_nc_u32_e32 v9, 1, v3
	v_lshlrev_b64 v[15:16], 2, v[3:4]
	v_add_nc_u32_e32 v11, 2, v3
	v_add_nc_u32_e32 v13, 3, v3
	;; [unrolled: 1-line block ×3, first 2 shown]
	v_add_co_u32 v5, s0, s20, v5
	v_lshlrev_b64 v[9:10], 2, v[9:10]
	v_add_co_ci_u32_e64 v6, s0, s21, v6, s0
	v_lshlrev_b64 v[11:12], 2, v[11:12]
	v_add_co_u32 v15, s0, s22, v15
	s_delay_alu instid0(VALU_DEP_1) | instskip(SKIP_2) | instid1(VALU_DEP_1)
	v_add_co_ci_u32_e64 v16, s0, s23, v16, s0
	global_store_b32 v[5:6], v1, off
	v_add_co_u32 v5, s0, s22, v9
	v_add_co_ci_u32_e64 v6, s0, s23, v10, s0
	v_add_nc_u32_e32 v1, s6, v25
	v_add_co_u32 v9, s0, s22, v11
	v_lshlrev_b64 v[13:14], 2, v[13:14]
	v_add_co_ci_u32_e64 v10, s0, s23, v12, s0
	v_lshlrev_b64 v[11:12], 2, v[17:18]
	v_add_nc_u32_e32 v17, 5, v3
	ds_load_b32 v1, v1
	ds_load_b32 v19, v19
	;; [unrolled: 1-line block ×6, first 2 shown]
	ds_load_b32 v46, v25 offset:32
	v_add_nc_u32_e32 v36, 6, v3
	v_add_co_u32 v13, s0, s22, v13
	v_lshlrev_b64 v[17:18], 2, v[17:18]
	v_add_nc_u32_e32 v38, 7, v3
	v_add_co_ci_u32_e64 v14, s0, s23, v14, s0
	v_add_co_u32 v11, s0, s22, v11
	v_lshlrev_b64 v[36:37], 2, v[36:37]
	v_add_nc_u32_e32 v3, 8, v3
	v_add_co_ci_u32_e64 v12, s0, s23, v12, s0
	v_add_co_u32 v17, s0, s22, v17
	v_lshlrev_b64 v[38:39], 2, v[38:39]
	v_add_co_ci_u32_e64 v18, s0, s23, v18, s0
	v_add_co_u32 v36, s0, s22, v36
	v_lshlrev_b64 v[40:41], 2, v[3:4]
	v_add_co_ci_u32_e64 v37, s0, s23, v37, s0
	v_add_co_u32 v38, s0, s22, v38
	s_delay_alu instid0(VALU_DEP_1) | instskip(NEXT) | instid1(VALU_DEP_4)
	v_add_co_ci_u32_e64 v39, s0, s23, v39, s0
	v_add_co_u32 v40, s0, s22, v40
	s_delay_alu instid0(VALU_DEP_1)
	v_add_co_ci_u32_e64 v41, s0, s23, v41, s0
	s_waitcnt lgkmcnt(7)
	global_store_b32 v[15:16], v7, off
	s_waitcnt lgkmcnt(6)
	global_store_b32 v[5:6], v1, off
	;; [unrolled: 2-line block ×3, first 2 shown]
	s_waitcnt lgkmcnt(4)
	s_clause 0x1
	global_store_b32 v[13:14], v44, off
	global_store_b32 v[11:12], v8, off
	s_waitcnt lgkmcnt(3)
	global_store_b32 v[17:18], v45, off
	s_waitcnt lgkmcnt(2)
	;; [unrolled: 2-line block ×4, first 2 shown]
	global_store_b32 v[40:41], v46, off
	s_branch .LBB2_10
.LBB2_39:
	s_nop 0
	s_sendmsg sendmsg(MSG_DEALLOC_VGPRS)
	s_endpgm
	.section	.rodata,"a",@progbits
	.p2align	6, 0x0
	.amdhsa_kernel _ZN9rocsparseL39bsrgeam_wf_per_row_multipass_2_3_kernelILj256ELj3ELj32EfEEv20rocsparse_direction_iiiNS_24const_host_device_scalarIT2_EEPKiS6_PKS3_S4_S6_S6_S8_S6_PiPS3_21rocsparse_index_base_SB_SB_b
		.amdhsa_group_segment_fixed_size 9472
		.amdhsa_private_segment_fixed_size 0
		.amdhsa_kernarg_size 120
		.amdhsa_user_sgpr_count 15
		.amdhsa_user_sgpr_dispatch_ptr 0
		.amdhsa_user_sgpr_queue_ptr 0
		.amdhsa_user_sgpr_kernarg_segment_ptr 1
		.amdhsa_user_sgpr_dispatch_id 0
		.amdhsa_user_sgpr_private_segment_size 0
		.amdhsa_wavefront_size32 1
		.amdhsa_uses_dynamic_stack 0
		.amdhsa_enable_private_segment 0
		.amdhsa_system_sgpr_workgroup_id_x 1
		.amdhsa_system_sgpr_workgroup_id_y 0
		.amdhsa_system_sgpr_workgroup_id_z 0
		.amdhsa_system_sgpr_workgroup_info 0
		.amdhsa_system_vgpr_workitem_id 0
		.amdhsa_next_free_vgpr 51
		.amdhsa_next_free_sgpr 30
		.amdhsa_reserve_vcc 1
		.amdhsa_float_round_mode_32 0
		.amdhsa_float_round_mode_16_64 0
		.amdhsa_float_denorm_mode_32 3
		.amdhsa_float_denorm_mode_16_64 3
		.amdhsa_dx10_clamp 1
		.amdhsa_ieee_mode 1
		.amdhsa_fp16_overflow 0
		.amdhsa_workgroup_processor_mode 1
		.amdhsa_memory_ordered 1
		.amdhsa_forward_progress 0
		.amdhsa_shared_vgpr_count 0
		.amdhsa_exception_fp_ieee_invalid_op 0
		.amdhsa_exception_fp_denorm_src 0
		.amdhsa_exception_fp_ieee_div_zero 0
		.amdhsa_exception_fp_ieee_overflow 0
		.amdhsa_exception_fp_ieee_underflow 0
		.amdhsa_exception_fp_ieee_inexact 0
		.amdhsa_exception_int_div_zero 0
	.end_amdhsa_kernel
	.section	.text._ZN9rocsparseL39bsrgeam_wf_per_row_multipass_2_3_kernelILj256ELj3ELj32EfEEv20rocsparse_direction_iiiNS_24const_host_device_scalarIT2_EEPKiS6_PKS3_S4_S6_S6_S8_S6_PiPS3_21rocsparse_index_base_SB_SB_b,"axG",@progbits,_ZN9rocsparseL39bsrgeam_wf_per_row_multipass_2_3_kernelILj256ELj3ELj32EfEEv20rocsparse_direction_iiiNS_24const_host_device_scalarIT2_EEPKiS6_PKS3_S4_S6_S6_S8_S6_PiPS3_21rocsparse_index_base_SB_SB_b,comdat
.Lfunc_end2:
	.size	_ZN9rocsparseL39bsrgeam_wf_per_row_multipass_2_3_kernelILj256ELj3ELj32EfEEv20rocsparse_direction_iiiNS_24const_host_device_scalarIT2_EEPKiS6_PKS3_S4_S6_S6_S8_S6_PiPS3_21rocsparse_index_base_SB_SB_b, .Lfunc_end2-_ZN9rocsparseL39bsrgeam_wf_per_row_multipass_2_3_kernelILj256ELj3ELj32EfEEv20rocsparse_direction_iiiNS_24const_host_device_scalarIT2_EEPKiS6_PKS3_S4_S6_S6_S8_S6_PiPS3_21rocsparse_index_base_SB_SB_b
                                        ; -- End function
	.section	.AMDGPU.csdata,"",@progbits
; Kernel info:
; codeLenInByte = 3528
; NumSgprs: 32
; NumVgprs: 51
; ScratchSize: 0
; MemoryBound: 0
; FloatMode: 240
; IeeeMode: 1
; LDSByteSize: 9472 bytes/workgroup (compile time only)
; SGPRBlocks: 3
; VGPRBlocks: 6
; NumSGPRsForWavesPerEU: 32
; NumVGPRsForWavesPerEU: 51
; Occupancy: 16
; WaveLimiterHint : 1
; COMPUTE_PGM_RSRC2:SCRATCH_EN: 0
; COMPUTE_PGM_RSRC2:USER_SGPR: 15
; COMPUTE_PGM_RSRC2:TRAP_HANDLER: 0
; COMPUTE_PGM_RSRC2:TGID_X_EN: 1
; COMPUTE_PGM_RSRC2:TGID_Y_EN: 0
; COMPUTE_PGM_RSRC2:TGID_Z_EN: 0
; COMPUTE_PGM_RSRC2:TIDIG_COMP_CNT: 0
	.section	.text._ZN9rocsparseL39bsrgeam_wf_per_row_multipass_2_3_kernelILj256ELj3ELj64EfEEv20rocsparse_direction_iiiNS_24const_host_device_scalarIT2_EEPKiS6_PKS3_S4_S6_S6_S8_S6_PiPS3_21rocsparse_index_base_SB_SB_b,"axG",@progbits,_ZN9rocsparseL39bsrgeam_wf_per_row_multipass_2_3_kernelILj256ELj3ELj64EfEEv20rocsparse_direction_iiiNS_24const_host_device_scalarIT2_EEPKiS6_PKS3_S4_S6_S6_S8_S6_PiPS3_21rocsparse_index_base_SB_SB_b,comdat
	.globl	_ZN9rocsparseL39bsrgeam_wf_per_row_multipass_2_3_kernelILj256ELj3ELj64EfEEv20rocsparse_direction_iiiNS_24const_host_device_scalarIT2_EEPKiS6_PKS3_S4_S6_S6_S8_S6_PiPS3_21rocsparse_index_base_SB_SB_b ; -- Begin function _ZN9rocsparseL39bsrgeam_wf_per_row_multipass_2_3_kernelILj256ELj3ELj64EfEEv20rocsparse_direction_iiiNS_24const_host_device_scalarIT2_EEPKiS6_PKS3_S4_S6_S6_S8_S6_PiPS3_21rocsparse_index_base_SB_SB_b
	.p2align	8
	.type	_ZN9rocsparseL39bsrgeam_wf_per_row_multipass_2_3_kernelILj256ELj3ELj64EfEEv20rocsparse_direction_iiiNS_24const_host_device_scalarIT2_EEPKiS6_PKS3_S4_S6_S6_S8_S6_PiPS3_21rocsparse_index_base_SB_SB_b,@function
_ZN9rocsparseL39bsrgeam_wf_per_row_multipass_2_3_kernelILj256ELj3ELj64EfEEv20rocsparse_direction_iiiNS_24const_host_device_scalarIT2_EEPKiS6_PKS3_S4_S6_S6_S8_S6_PiPS3_21rocsparse_index_base_SB_SB_b: ; @_ZN9rocsparseL39bsrgeam_wf_per_row_multipass_2_3_kernelILj256ELj3ELj64EfEEv20rocsparse_direction_iiiNS_24const_host_device_scalarIT2_EEPKiS6_PKS3_S4_S6_S6_S8_S6_PiPS3_21rocsparse_index_base_SB_SB_b
; %bb.0:
	s_clause 0x2
	s_load_b128 s[4:7], s[0:1], 0x68
	s_load_b64 s[2:3], s[0:1], 0x10
	s_load_b64 s[24:25], s[0:1], 0x30
	s_waitcnt lgkmcnt(0)
	s_bitcmp1_b32 s7, 0
	s_cselect_b32 s7, -1, 0
	s_delay_alu instid0(SALU_CYCLE_1)
	s_and_b32 vcc_lo, exec_lo, s7
	s_xor_b32 s7, s7, -1
	s_cbranch_vccnz .LBB3_2
; %bb.1:
	s_load_b32 s2, s[2:3], 0x0
.LBB3_2:
	s_and_not1_b32 vcc_lo, exec_lo, s7
	s_cbranch_vccnz .LBB3_4
; %bb.3:
	s_load_b32 s24, s[24:25], 0x0
.LBB3_4:
	s_load_b128 s[8:11], s[0:1], 0x0
	v_lshrrev_b32_e32 v7, 6, v0
	s_lshl_b32 s3, s15, 2
	s_delay_alu instid0(VALU_DEP_1) | instid1(SALU_CYCLE_1)
	v_and_or_b32 v1, 0x3fffffc, s3, v7
	s_mov_b32 s3, exec_lo
	s_waitcnt lgkmcnt(0)
	s_delay_alu instid0(VALU_DEP_1)
	v_cmpx_gt_i32_e64 s9, v1
	s_cbranch_execz .LBB3_39
; %bb.5:
	s_clause 0x2
	s_load_b128 s[12:15], s[0:1], 0x18
	s_load_b128 s[16:19], s[0:1], 0x38
	s_load_b64 s[20:21], s[0:1], 0x50
	v_lshlrev_b32_e32 v1, 2, v1
	s_waitcnt lgkmcnt(0)
	s_clause 0x2
	global_load_b64 v[5:6], v1, s[12:13]
	global_load_b64 v[3:4], v1, s[16:17]
	global_load_b32 v8, v1, s[20:21]
	s_waitcnt vmcnt(2)
	v_subrev_nc_u32_e32 v1, s4, v5
	v_cmp_lt_i32_e32 vcc_lo, v5, v6
	v_mov_b32_e32 v5, s10
	s_and_saveexec_b32 s3, vcc_lo
	s_cbranch_execz .LBB3_7
; %bb.6:
	v_ashrrev_i32_e32 v2, 31, v1
	s_delay_alu instid0(VALU_DEP_1) | instskip(NEXT) | instid1(VALU_DEP_1)
	v_lshlrev_b64 v[9:10], 2, v[1:2]
	v_add_co_u32 v9, vcc_lo, s14, v9
	s_delay_alu instid0(VALU_DEP_2)
	v_add_co_ci_u32_e32 v10, vcc_lo, s15, v10, vcc_lo
	global_load_b32 v2, v[9:10], off
	s_waitcnt vmcnt(0)
	v_subrev_nc_u32_e32 v5, s4, v2
.LBB3_7:
	s_or_b32 exec_lo, exec_lo, s3
	s_clause 0x2
	s_load_b128 s[20:23], s[0:1], 0x58
	s_load_b64 s[12:13], s[0:1], 0x28
	s_load_b64 s[16:17], s[0:1], 0x48
	s_waitcnt vmcnt(1)
	v_subrev_nc_u32_e32 v2, s5, v3
	v_cmp_lt_i32_e32 vcc_lo, v3, v4
	v_mov_b32_e32 v3, s10
	s_and_saveexec_b32 s0, vcc_lo
	s_cbranch_execz .LBB3_9
; %bb.8:
	v_ashrrev_i32_e32 v3, 31, v2
	s_delay_alu instid0(VALU_DEP_1) | instskip(NEXT) | instid1(VALU_DEP_1)
	v_lshlrev_b64 v[9:10], 2, v[2:3]
	v_add_co_u32 v9, vcc_lo, s18, v9
	s_delay_alu instid0(VALU_DEP_2)
	v_add_co_ci_u32_e32 v10, vcc_lo, s19, v10, vcc_lo
	global_load_b32 v3, v[9:10], off
	s_waitcnt vmcnt(0)
	v_subrev_nc_u32_e32 v3, s5, v3
.LBB3_9:
	s_or_b32 exec_lo, exec_lo, s0
	v_mul_u32_u24_e32 v7, 0x240, v7
	v_subrev_nc_u32_e32 v22, s4, v6
	s_movk_i32 s0, 0xc0
	s_waitcnt vmcnt(0)
	v_subrev_nc_u32_e32 v26, s6, v8
	v_and_or_b32 v23, v0, s0, 0x2400
	v_lshlrev_b32_e32 v24, 2, v7
	v_mbcnt_lo_u32_b32 v7, -1, 0
	v_and_b32_e32 v6, 63, v0
	v_min_i32_e32 v38, v3, v5
	v_subrev_nc_u32_e32 v25, s5, v4
	s_cmp_lg_u32 s8, 0
	v_xor_b32_e32 v8, 16, v7
	v_add_nc_u32_e32 v0, v1, v6
	v_or_b32_e32 v1, 32, v7
	v_xor_b32_e32 v9, 1, v7
	s_cselect_b32 s3, -1, 0
	s_cmp_eq_u32 s8, 0
	s_mov_b32 s1, 0
	v_cmp_gt_i32_e32 vcc_lo, 32, v1
	s_cselect_b32 s7, 8, 24
	s_cselect_b32 s8, 12, 4
	;; [unrolled: 1-line block ×4, first 2 shown]
	v_cndmask_b32_e32 v1, v7, v1, vcc_lo
	v_xor_b32_e32 v3, 63, v6
	v_cmp_gt_i32_e32 vcc_lo, 32, v8
	v_add_nc_u32_e32 v35, v23, v6
	s_cselect_b32 s25, 28, 20
	v_mov_b32_e32 v36, 1
	v_lshrrev_b64 v[4:5], v3, -1
	v_cndmask_b32_e32 v3, v7, v8, vcc_lo
	v_xor_b32_e32 v8, 2, v7
	v_lshlrev_b32_e32 v29, 2, v1
	v_xor_b32_e32 v1, 8, v7
	v_xor_b32_e32 v5, 4, v7
	v_mad_u32_u24 v27, v6, 36, v24
	v_lshlrev_b32_e32 v30, 2, v3
	s_delay_alu instid0(VALU_DEP_4) | instskip(SKIP_3) | instid1(VALU_DEP_3)
	v_cmp_gt_i32_e32 vcc_lo, 32, v1
	v_cndmask_b32_e32 v1, v7, v1, vcc_lo
	v_cmp_gt_i32_e32 vcc_lo, 32, v5
	v_add_nc_u32_e32 v2, v2, v6
	v_lshlrev_b32_e32 v31, 2, v1
	v_cndmask_b32_e32 v5, v7, v5, vcc_lo
	v_cmp_gt_i32_e32 vcc_lo, 32, v8
	s_delay_alu instid0(VALU_DEP_2)
	v_lshlrev_b32_e32 v32, 2, v5
	v_cndmask_b32_e32 v8, v7, v8, vcc_lo
	v_cmp_gt_i32_e32 vcc_lo, 32, v9
	v_add_nc_u32_e32 v28, s6, v6
	v_mov_b32_e32 v6, 0
	s_cselect_b32 s6, 4, 12
	v_lshlrev_b32_e32 v33, 2, v8
	v_cndmask_b32_e32 v7, v7, v9, vcc_lo
	s_delay_alu instid0(VALU_DEP_1)
	v_lshlrev_b32_e32 v34, 2, v7
	s_branch .LBB3_11
.LBB3_10:                               ;   in Loop: Header=BB3_11 Depth=1
	s_or_b32 exec_lo, exec_lo, s26
	ds_bpermute_b32 v1, v29, v37
	s_bcnt1_i32_b32 s26, vcc_lo
	s_delay_alu instid0(SALU_CYCLE_1)
	v_add_nc_u32_e32 v26, s26, v26
	s_waitcnt lgkmcnt(0)
	v_min_i32_e32 v1, v1, v37
	ds_bpermute_b32 v3, v30, v1
	s_waitcnt lgkmcnt(0)
	v_min_i32_e32 v1, v3, v1
	ds_bpermute_b32 v3, v31, v1
	;; [unrolled: 3-line block ×5, first 2 shown]
	s_waitcnt lgkmcnt(0)
	v_min_i32_e32 v38, v3, v1
	s_delay_alu instid0(VALU_DEP_1) | instskip(NEXT) | instid1(VALU_DEP_1)
	v_cmp_le_i32_e64 s0, s10, v38
	s_or_b32 s1, s0, s1
	s_delay_alu instid0(SALU_CYCLE_1)
	s_and_not1_b32 exec_lo, exec_lo, s1
	s_cbranch_execz .LBB3_39
.LBB3_11:                               ; =>This Loop Header: Depth=1
                                        ;     Child Loop BB3_14 Depth 2
                                        ;     Child Loop BB3_27 Depth 2
	v_mov_b32_e32 v37, s10
	s_mov_b32 s26, exec_lo
	ds_store_2addr_b32 v27, v6, v6 offset1:1
	ds_store_2addr_b32 v27, v6, v6 offset0:2 offset1:3
	ds_store_2addr_b32 v27, v6, v6 offset0:4 offset1:5
	;; [unrolled: 1-line block ×3, first 2 shown]
	ds_store_b8 v35, v6
	ds_store_b32 v27, v6 offset:32
	s_waitcnt lgkmcnt(0)
	buffer_gl0_inv
	v_cmpx_lt_i32_e64 v0, v22
	s_cbranch_execz .LBB3_24
; %bb.12:                               ;   in Loop: Header=BB3_11 Depth=1
	v_mad_u64_u32 v[7:8], null, v0, 9, 8
	v_mov_b32_e32 v37, s10
	s_mov_b32 s27, 0
	s_branch .LBB3_14
.LBB3_13:                               ;   in Loop: Header=BB3_14 Depth=2
	s_or_b32 exec_lo, exec_lo, s29
	s_delay_alu instid0(SALU_CYCLE_1) | instskip(NEXT) | instid1(SALU_CYCLE_1)
	s_and_b32 s0, exec_lo, s28
	s_or_b32 s27, s0, s27
	s_delay_alu instid0(SALU_CYCLE_1)
	s_and_not1_b32 exec_lo, exec_lo, s27
	s_cbranch_execz .LBB3_23
.LBB3_14:                               ;   Parent Loop BB3_11 Depth=1
                                        ; =>  This Inner Loop Header: Depth=2
	v_ashrrev_i32_e32 v1, 31, v0
	s_mov_b32 s28, exec_lo
	s_delay_alu instid0(VALU_DEP_1) | instskip(NEXT) | instid1(VALU_DEP_1)
	v_lshlrev_b64 v[8:9], 2, v[0:1]
	v_add_co_u32 v8, vcc_lo, s14, v8
	s_delay_alu instid0(VALU_DEP_2) | instskip(SKIP_3) | instid1(VALU_DEP_1)
	v_add_co_ci_u32_e32 v9, vcc_lo, s15, v9, vcc_lo
	global_load_b32 v1, v[8:9], off
	s_waitcnt vmcnt(0)
	v_subrev_nc_u32_e32 v3, s4, v1
	v_sub_nc_u32_e32 v1, v3, v38
	s_delay_alu instid0(VALU_DEP_1)
	v_cmp_gt_u32_e64 s0, 64, v1
	v_cmpx_lt_u32_e32 63, v1
	s_xor_b32 s28, exec_lo, s28
; %bb.15:                               ;   in Loop: Header=BB3_14 Depth=2
	v_min_i32_e32 v37, v3, v37
                                        ; implicit-def: $vgpr1
; %bb.16:                               ;   in Loop: Header=BB3_14 Depth=2
	s_and_not1_saveexec_b32 s28, s28
	s_cbranch_execz .LBB3_21
; %bb.17:                               ;   in Loop: Header=BB3_14 Depth=2
	v_add_nc_u32_e32 v5, -8, v7
	v_add_nc_u32_e32 v13, -2, v7
	;; [unrolled: 1-line block ×5, first 2 shown]
	v_lshlrev_b64 v[8:9], 2, v[5:6]
	v_add_nc_u32_e32 v5, -4, v7
	v_add_nc_u32_e32 v15, -3, v7
	s_delay_alu instid0(VALU_DEP_3) | instskip(NEXT) | instid1(VALU_DEP_4)
	v_add_co_u32 v8, vcc_lo, s12, v8
	v_add_co_ci_u32_e32 v9, vcc_lo, s13, v9, vcc_lo
	global_load_b32 v3, v[8:9], off
	v_mul_lo_u32 v8, v1, 36
	v_lshlrev_b64 v[9:10], 2, v[5:6]
	v_add_nc_u32_e32 v12, v23, v1
	v_add_nc_u32_e32 v5, -5, v7
	s_delay_alu instid0(VALU_DEP_3)
	v_add_co_u32 v9, vcc_lo, s12, v9
	v_add_nc_u32_e32 v1, v24, v8
	v_add_co_ci_u32_e32 v10, vcc_lo, s13, v10, vcc_lo
	s_and_not1_b32 vcc_lo, exec_lo, s3
	s_waitcnt vmcnt(0)
	v_mul_f32_e32 v3, s2, v3
	ds_store_b8 v12, v36
	ds_store_b32 v1, v3
	s_cbranch_vccnz .LBB3_19
; %bb.18:                               ;   in Loop: Header=BB3_14 Depth=2
	v_mov_b32_e32 v14, v6
	v_lshlrev_b64 v[39:40], 2, v[5:6]
	v_mov_b32_e32 v20, v6
	v_mov_b32_e32 v12, v6
	;; [unrolled: 1-line block ×3, first 2 shown]
	v_lshlrev_b64 v[41:42], 2, v[13:14]
	v_mov_b32_e32 v16, v6
	v_lshlrev_b64 v[20:21], 2, v[19:20]
	v_add_co_u32 v39, vcc_lo, s12, v39
	v_add_co_ci_u32_e32 v40, vcc_lo, s13, v40, vcc_lo
	v_add_co_u32 v41, vcc_lo, s12, v41
	v_lshlrev_b64 v[43:44], 2, v[11:12]
	v_add_co_ci_u32_e32 v42, vcc_lo, s13, v42, vcc_lo
	v_add_co_u32 v20, vcc_lo, s12, v20
	v_lshlrev_b64 v[45:46], 2, v[17:18]
	v_mov_b32_e32 v8, v6
	v_add_co_ci_u32_e32 v21, vcc_lo, s13, v21, vcc_lo
	v_add_co_u32 v43, vcc_lo, s12, v43
	v_lshlrev_b64 v[47:48], 2, v[15:16]
	v_add_co_ci_u32_e32 v44, vcc_lo, s13, v44, vcc_lo
	v_add_co_u32 v45, vcc_lo, s12, v45
	v_lshlrev_b64 v[49:50], 2, v[7:8]
	v_add_co_ci_u32_e32 v46, vcc_lo, s13, v46, vcc_lo
	v_add_co_u32 v47, vcc_lo, s12, v47
	v_add_co_ci_u32_e32 v48, vcc_lo, s13, v48, vcc_lo
	s_delay_alu instid0(VALU_DEP_4)
	v_add_co_u32 v49, vcc_lo, s12, v49
	v_add_co_ci_u32_e32 v50, vcc_lo, s13, v50, vcc_lo
	s_clause 0x7
	global_load_b32 v3, v[39:40], off
	global_load_b32 v8, v[41:42], off
	;; [unrolled: 1-line block ×8, first 2 shown]
	s_waitcnt vmcnt(6)
	v_dual_mul_f32 v3, s2, v3 :: v_dual_mul_f32 v8, s2, v8
	s_waitcnt vmcnt(5)
	v_mul_f32_e32 v12, s2, v12
	s_waitcnt vmcnt(4)
	v_mul_f32_e32 v14, s2, v14
	;; [unrolled: 2-line block ×4, first 2 shown]
	s_waitcnt vmcnt(0)
	v_dual_mul_f32 v20, s2, v20 :: v_dual_mul_f32 v21, s2, v21
	ds_store_2addr_b32 v1, v3, v8 offset0:1 offset1:2
	ds_store_2addr_b32 v1, v12, v21 offset0:3 offset1:4
	;; [unrolled: 1-line block ×4, first 2 shown]
	s_cbranch_execz .LBB3_20
	s_branch .LBB3_21
.LBB3_19:                               ;   in Loop: Header=BB3_14 Depth=2
.LBB3_20:                               ;   in Loop: Header=BB3_14 Depth=2
	v_mov_b32_e32 v20, v6
	v_mov_b32_e32 v18, v6
	;; [unrolled: 1-line block ×3, first 2 shown]
	v_lshlrev_b64 v[39:40], 2, v[5:6]
	v_mov_b32_e32 v14, v6
	v_lshlrev_b64 v[19:20], 2, v[19:20]
	v_lshlrev_b64 v[17:18], 2, v[17:18]
	;; [unrolled: 1-line block ×3, first 2 shown]
	v_mov_b32_e32 v12, v6
	v_lshlrev_b64 v[13:14], 2, v[13:14]
	v_mov_b32_e32 v8, v6
	v_add_co_u32 v19, vcc_lo, s12, v19
	v_add_co_ci_u32_e32 v20, vcc_lo, s13, v20, vcc_lo
	v_add_co_u32 v17, vcc_lo, s12, v17
	v_add_co_ci_u32_e32 v18, vcc_lo, s13, v18, vcc_lo
	v_add_co_u32 v39, vcc_lo, s12, v39
	v_add_co_ci_u32_e32 v40, vcc_lo, s13, v40, vcc_lo
	v_add_co_u32 v15, vcc_lo, s12, v15
	v_lshlrev_b64 v[11:12], 2, v[11:12]
	v_add_co_ci_u32_e32 v16, vcc_lo, s13, v16, vcc_lo
	v_add_co_u32 v13, vcc_lo, s12, v13
	v_lshlrev_b64 v[41:42], 2, v[7:8]
	v_add_co_ci_u32_e32 v14, vcc_lo, s13, v14, vcc_lo
	v_add_co_u32 v11, vcc_lo, s12, v11
	v_add_co_ci_u32_e32 v12, vcc_lo, s13, v12, vcc_lo
	s_delay_alu instid0(VALU_DEP_4)
	v_add_co_u32 v41, vcc_lo, s12, v41
	v_add_co_ci_u32_e32 v42, vcc_lo, s13, v42, vcc_lo
	s_clause 0x7
	global_load_b32 v3, v[19:20], off
	global_load_b32 v5, v[17:18], off
	;; [unrolled: 1-line block ×8, first 2 shown]
	s_waitcnt vmcnt(7)
	v_mul_f32_e32 v3, s2, v3
	s_waitcnt vmcnt(5)
	v_dual_mul_f32 v5, s2, v5 :: v_dual_mul_f32 v8, s2, v8
	s_waitcnt vmcnt(3)
	v_dual_mul_f32 v10, s2, v15 :: v_dual_mul_f32 v13, s2, v13
	;; [unrolled: 2-line block ×3, first 2 shown]
	s_waitcnt vmcnt(0)
	v_mul_f32_e32 v9, s2, v9
	ds_store_2addr_b32 v1, v3, v5 offset0:1 offset1:2
	ds_store_2addr_b32 v1, v8, v9 offset0:3 offset1:4
	;; [unrolled: 1-line block ×4, first 2 shown]
.LBB3_21:                               ;   in Loop: Header=BB3_14 Depth=2
	s_or_b32 exec_lo, exec_lo, s28
	s_mov_b32 s28, -1
	s_and_saveexec_b32 s29, s0
	s_cbranch_execz .LBB3_13
; %bb.22:                               ;   in Loop: Header=BB3_14 Depth=2
	v_add_nc_u32_e32 v0, 64, v0
	v_add_nc_u32_e32 v7, 0x240, v7
	s_delay_alu instid0(VALU_DEP_2)
	v_cmp_ge_i32_e32 vcc_lo, v0, v22
	s_or_not1_b32 s28, vcc_lo, exec_lo
	s_branch .LBB3_13
.LBB3_23:                               ;   in Loop: Header=BB3_11 Depth=1
	s_or_b32 exec_lo, exec_lo, s27
.LBB3_24:                               ;   in Loop: Header=BB3_11 Depth=1
	s_delay_alu instid0(SALU_CYCLE_1) | instskip(NEXT) | instid1(SALU_CYCLE_1)
	s_or_b32 exec_lo, exec_lo, s26
	s_mov_b32 s26, exec_lo
	s_waitcnt lgkmcnt(0)
	buffer_gl0_inv
	v_cmpx_lt_i32_e64 v2, v25
	s_cbranch_execz .LBB3_37
; %bb.25:                               ;   in Loop: Header=BB3_11 Depth=1
	v_mad_u64_u32 v[7:8], null, v2, 9, 8
	s_mov_b32 s27, 0
	s_branch .LBB3_27
.LBB3_26:                               ;   in Loop: Header=BB3_27 Depth=2
	s_or_b32 exec_lo, exec_lo, s29
	s_delay_alu instid0(SALU_CYCLE_1) | instskip(NEXT) | instid1(SALU_CYCLE_1)
	s_and_b32 s0, exec_lo, s28
	s_or_b32 s27, s0, s27
	s_delay_alu instid0(SALU_CYCLE_1)
	s_and_not1_b32 exec_lo, exec_lo, s27
	s_cbranch_execz .LBB3_36
.LBB3_27:                               ;   Parent Loop BB3_11 Depth=1
                                        ; =>  This Inner Loop Header: Depth=2
	v_ashrrev_i32_e32 v3, 31, v2
	s_mov_b32 s28, exec_lo
	s_delay_alu instid0(VALU_DEP_1) | instskip(NEXT) | instid1(VALU_DEP_1)
	v_lshlrev_b64 v[8:9], 2, v[2:3]
	v_add_co_u32 v8, vcc_lo, s18, v8
	s_delay_alu instid0(VALU_DEP_2) | instskip(SKIP_3) | instid1(VALU_DEP_1)
	v_add_co_ci_u32_e32 v9, vcc_lo, s19, v9, vcc_lo
	global_load_b32 v1, v[8:9], off
	s_waitcnt vmcnt(0)
	v_subrev_nc_u32_e32 v1, s5, v1
	v_sub_nc_u32_e32 v3, v1, v38
	s_delay_alu instid0(VALU_DEP_1)
	v_cmp_gt_u32_e64 s0, 64, v3
	v_cmpx_lt_u32_e32 63, v3
	s_xor_b32 s28, exec_lo, s28
; %bb.28:                               ;   in Loop: Header=BB3_27 Depth=2
	v_min_i32_e32 v37, v1, v37
                                        ; implicit-def: $vgpr3
; %bb.29:                               ;   in Loop: Header=BB3_27 Depth=2
	s_and_not1_saveexec_b32 s28, s28
	s_cbranch_execz .LBB3_34
; %bb.30:                               ;   in Loop: Header=BB3_27 Depth=2
	v_add_nc_u32_e32 v5, -8, v7
	v_mul_lo_u32 v1, v3, 36
	v_add_nc_u32_e32 v3, v23, v3
	v_add_nc_u32_e32 v12, -2, v7
	v_add_nc_u32_e32 v20, -7, v7
	v_lshlrev_b64 v[8:9], 2, v[5:6]
	v_add_nc_u32_e32 v5, -4, v7
	v_add_nc_u32_e32 v10, -1, v7
	;; [unrolled: 1-line block ×3, first 2 shown]
	v_add_nc_u32_e32 v1, v24, v1
	v_add_nc_u32_e32 v16, -3, v7
	v_add_co_u32 v8, vcc_lo, s16, v8
	v_add_co_ci_u32_e32 v9, vcc_lo, s17, v9, vcc_lo
	v_lshlrev_b64 v[14:15], 2, v[5:6]
	v_add_nc_u32_e32 v5, -5, v7
	global_load_b32 v11, v[8:9], off
	ds_load_2addr_b32 v[8:9], v1 offset1:1
	v_add_co_u32 v14, vcc_lo, s16, v14
	v_add_co_ci_u32_e32 v15, vcc_lo, s17, v15, vcc_lo
	s_and_not1_b32 vcc_lo, exec_lo, s3
	s_waitcnt vmcnt(0) lgkmcnt(0)
	v_fma_f32 v8, s24, v11, v8
	ds_store_b8 v3, v36
	ds_store_b32 v1, v8
	s_cbranch_vccnz .LBB3_32
; %bb.31:                               ;   in Loop: Header=BB3_27 Depth=2
	v_mov_b32_e32 v13, v6
	v_lshlrev_b64 v[39:40], 2, v[5:6]
	v_mov_b32_e32 v21, v6
	v_mov_b32_e32 v11, v6
	;; [unrolled: 1-line block ×3, first 2 shown]
	v_lshlrev_b64 v[41:42], 2, v[12:13]
	v_mov_b32_e32 v17, v6
	v_lshlrev_b64 v[43:44], 2, v[20:21]
	v_add_co_u32 v39, vcc_lo, s16, v39
	v_add_co_ci_u32_e32 v40, vcc_lo, s17, v40, vcc_lo
	v_add_co_u32 v41, vcc_lo, s16, v41
	v_lshlrev_b64 v[45:46], 2, v[10:11]
	v_add_co_ci_u32_e32 v42, vcc_lo, s17, v42, vcc_lo
	v_add_co_u32 v43, vcc_lo, s16, v43
	v_lshlrev_b64 v[47:48], 2, v[18:19]
	v_mov_b32_e32 v8, v6
	v_add_co_ci_u32_e32 v44, vcc_lo, s17, v44, vcc_lo
	v_add_co_u32 v45, vcc_lo, s16, v45
	v_lshlrev_b64 v[49:50], 2, v[16:17]
	v_add_co_ci_u32_e32 v46, vcc_lo, s17, v46, vcc_lo
	v_add_co_u32 v47, vcc_lo, s16, v47
	v_lshlrev_b64 v[51:52], 2, v[7:8]
	v_add_co_ci_u32_e32 v48, vcc_lo, s17, v48, vcc_lo
	v_add_co_u32 v49, vcc_lo, s16, v49
	v_add_co_ci_u32_e32 v50, vcc_lo, s17, v50, vcc_lo
	global_load_b32 v3, v[14:15], off
	v_add_co_u32 v51, vcc_lo, s16, v51
	v_add_co_ci_u32_e32 v52, vcc_lo, s17, v52, vcc_lo
	s_clause 0x6
	global_load_b32 v8, v[39:40], off
	global_load_b32 v11, v[41:42], off
	;; [unrolled: 1-line block ×7, first 2 shown]
	ds_load_2addr_b32 v[39:40], v1 offset0:4 offset1:5
	ds_load_2addr_b32 v[41:42], v1 offset0:2 offset1:3
	;; [unrolled: 1-line block ×3, first 2 shown]
	ds_load_b32 v46, v1 offset:32
	s_waitcnt vmcnt(6)
	v_fma_f32 v8, s24, v8, v9
	s_waitcnt vmcnt(5) lgkmcnt(2)
	v_fma_f32 v11, s24, v11, v41
	v_fma_f32 v3, s24, v3, v39
	s_waitcnt vmcnt(4)
	v_fmac_f32_e32 v42, s24, v13
	s_waitcnt vmcnt(3)
	v_fmac_f32_e32 v40, s24, v17
	s_waitcnt vmcnt(2) lgkmcnt(1)
	v_fma_f32 v13, s24, v19, v43
	s_waitcnt vmcnt(0) lgkmcnt(0)
	v_fmac_f32_e32 v46, s24, v45
	v_fmac_f32_e32 v44, s24, v21
	ds_store_2addr_b32 v1, v8, v11 offset0:1 offset1:2
	ds_store_2addr_b32 v1, v42, v3 offset0:3 offset1:4
	;; [unrolled: 1-line block ×4, first 2 shown]
	s_cbranch_execz .LBB3_33
	s_branch .LBB3_34
.LBB3_32:                               ;   in Loop: Header=BB3_27 Depth=2
.LBB3_33:                               ;   in Loop: Header=BB3_27 Depth=2
	v_mov_b32_e32 v21, v6
	v_mov_b32_e32 v19, v6
	;; [unrolled: 1-line block ×3, first 2 shown]
	v_lshlrev_b64 v[39:40], 2, v[5:6]
	v_mov_b32_e32 v13, v6
	v_lshlrev_b64 v[20:21], 2, v[20:21]
	v_lshlrev_b64 v[18:19], 2, v[18:19]
	;; [unrolled: 1-line block ×3, first 2 shown]
	v_mov_b32_e32 v11, v6
	v_lshlrev_b64 v[12:13], 2, v[12:13]
	v_mov_b32_e32 v8, v6
	v_add_co_u32 v20, vcc_lo, s16, v20
	v_add_co_ci_u32_e32 v21, vcc_lo, s17, v21, vcc_lo
	v_add_co_u32 v18, vcc_lo, s16, v18
	v_add_co_ci_u32_e32 v19, vcc_lo, s17, v19, vcc_lo
	;; [unrolled: 2-line block ×3, first 2 shown]
	global_load_b32 v3, v[14:15], off
	v_add_co_u32 v14, vcc_lo, s16, v16
	v_lshlrev_b64 v[10:11], 2, v[10:11]
	v_add_co_ci_u32_e32 v15, vcc_lo, s17, v17, vcc_lo
	v_add_co_u32 v12, vcc_lo, s16, v12
	v_lshlrev_b64 v[16:17], 2, v[7:8]
	v_add_co_ci_u32_e32 v13, vcc_lo, s17, v13, vcc_lo
	v_add_co_u32 v10, vcc_lo, s16, v10
	v_add_co_ci_u32_e32 v11, vcc_lo, s17, v11, vcc_lo
	s_delay_alu instid0(VALU_DEP_4)
	v_add_co_u32 v16, vcc_lo, s16, v16
	v_add_co_ci_u32_e32 v17, vcc_lo, s17, v17, vcc_lo
	s_clause 0x6
	global_load_b32 v5, v[20:21], off
	global_load_b32 v8, v[18:19], off
	;; [unrolled: 1-line block ×7, first 2 shown]
	ds_load_2addr_b32 v[10:11], v1 offset0:4 offset1:5
	ds_load_2addr_b32 v[12:13], v1 offset0:2 offset1:3
	;; [unrolled: 1-line block ×3, first 2 shown]
	ds_load_b32 v17, v1 offset:32
	s_waitcnt vmcnt(7) lgkmcnt(3)
	v_fma_f32 v3, s24, v3, v10
	s_waitcnt vmcnt(6)
	v_fmac_f32_e32 v9, s24, v5
	s_waitcnt vmcnt(5) lgkmcnt(2)
	v_fma_f32 v5, s24, v8, v12
	s_waitcnt vmcnt(4)
	v_fmac_f32_e32 v13, s24, v18
	s_waitcnt vmcnt(3)
	v_fmac_f32_e32 v11, s24, v19
	s_waitcnt vmcnt(2) lgkmcnt(1)
	v_fma_f32 v8, s24, v20, v14
	s_waitcnt vmcnt(1)
	v_fmac_f32_e32 v15, s24, v21
	s_waitcnt vmcnt(0) lgkmcnt(0)
	v_fmac_f32_e32 v17, s24, v16
	ds_store_2addr_b32 v1, v9, v5 offset0:1 offset1:2
	ds_store_2addr_b32 v1, v13, v3 offset0:3 offset1:4
	;; [unrolled: 1-line block ×4, first 2 shown]
.LBB3_34:                               ;   in Loop: Header=BB3_27 Depth=2
	s_or_b32 exec_lo, exec_lo, s28
	s_mov_b32 s28, -1
	s_and_saveexec_b32 s29, s0
	s_cbranch_execz .LBB3_26
; %bb.35:                               ;   in Loop: Header=BB3_27 Depth=2
	v_add_nc_u32_e32 v2, 64, v2
	v_add_nc_u32_e32 v7, 0x240, v7
	s_delay_alu instid0(VALU_DEP_2)
	v_cmp_ge_i32_e32 vcc_lo, v2, v25
	s_or_not1_b32 s28, vcc_lo, exec_lo
	s_branch .LBB3_26
.LBB3_36:                               ;   in Loop: Header=BB3_11 Depth=1
	s_or_b32 exec_lo, exec_lo, s27
.LBB3_37:                               ;   in Loop: Header=BB3_11 Depth=1
	s_delay_alu instid0(SALU_CYCLE_1)
	s_or_b32 exec_lo, exec_lo, s26
	s_waitcnt lgkmcnt(0)
	buffer_gl0_inv
	ds_load_u8 v1, v35
	s_mov_b32 s26, exec_lo
	s_waitcnt lgkmcnt(0)
	v_and_b32_e32 v3, 1, v1
	v_cmp_ne_u16_e32 vcc_lo, 0, v1
	s_delay_alu instid0(VALU_DEP_2)
	v_cmpx_eq_u32_e32 1, v3
	s_cbranch_execz .LBB3_10
; %bb.38:                               ;   in Loop: Header=BB3_11 Depth=1
	v_dual_mov_b32 v12, v6 :: v_dual_and_b32 v1, vcc_lo, v4
	v_add_nc_u32_e32 v3, s7, v27
	v_add_nc_u32_e32 v21, s8, v27
	;; [unrolled: 1-line block ×3, first 2 shown]
	s_delay_alu instid0(VALU_DEP_4)
	v_bcnt_u32_b32 v1, v1, 0
	v_add_nc_u32_e32 v43, s11, v27
	v_add_nc_u32_e32 v44, s25, v27
	ds_load_2addr_b32 v[9:10], v27 offset1:4
	v_mov_b32_e32 v14, v6
	v_add3_u32 v7, v26, v1, -1
	v_dual_mov_b32 v20, v6 :: v_dual_add_nc_u32 v1, v28, v38
	v_mov_b32_e32 v39, v6
	v_mov_b32_e32 v41, v6
	s_delay_alu instid0(VALU_DEP_4) | instskip(SKIP_2) | instid1(VALU_DEP_3)
	v_ashrrev_i32_e32 v8, 31, v7
	v_lshl_add_u32 v5, v7, 3, v7
	v_mov_b32_e32 v16, v6
	v_lshlrev_b64 v[7:8], 2, v[7:8]
	s_delay_alu instid0(VALU_DEP_3)
	v_add_nc_u32_e32 v11, 1, v5
	v_lshlrev_b64 v[17:18], 2, v[5:6]
	v_add_nc_u32_e32 v13, 2, v5
	v_add_nc_u32_e32 v15, 3, v5
	;; [unrolled: 1-line block ×3, first 2 shown]
	v_add_co_u32 v7, s0, s20, v7
	v_lshlrev_b64 v[11:12], 2, v[11:12]
	v_add_co_ci_u32_e64 v8, s0, s21, v8, s0
	v_lshlrev_b64 v[13:14], 2, v[13:14]
	v_add_co_u32 v17, s0, s22, v17
	s_delay_alu instid0(VALU_DEP_1) | instskip(SKIP_2) | instid1(VALU_DEP_1)
	v_add_co_ci_u32_e64 v18, s0, s23, v18, s0
	global_store_b32 v[7:8], v1, off
	v_add_co_u32 v7, s0, s22, v11
	v_add_co_ci_u32_e64 v8, s0, s23, v12, s0
	v_add_nc_u32_e32 v1, s6, v27
	v_add_co_u32 v11, s0, s22, v13
	v_lshlrev_b64 v[15:16], 2, v[15:16]
	v_add_co_ci_u32_e64 v12, s0, s23, v14, s0
	v_lshlrev_b64 v[13:14], 2, v[19:20]
	v_add_nc_u32_e32 v19, 5, v5
	ds_load_b32 v1, v1
	ds_load_b32 v3, v3
	;; [unrolled: 1-line block ×6, first 2 shown]
	ds_load_b32 v47, v27 offset:32
	v_add_nc_u32_e32 v38, 6, v5
	v_add_co_u32 v15, s0, s22, v15
	v_lshlrev_b64 v[19:20], 2, v[19:20]
	v_add_nc_u32_e32 v40, 7, v5
	v_add_co_ci_u32_e64 v16, s0, s23, v16, s0
	v_add_co_u32 v13, s0, s22, v13
	v_lshlrev_b64 v[38:39], 2, v[38:39]
	v_add_nc_u32_e32 v5, 8, v5
	v_add_co_ci_u32_e64 v14, s0, s23, v14, s0
	v_add_co_u32 v19, s0, s22, v19
	v_lshlrev_b64 v[40:41], 2, v[40:41]
	v_add_co_ci_u32_e64 v20, s0, s23, v20, s0
	v_add_co_u32 v38, s0, s22, v38
	v_lshlrev_b64 v[42:43], 2, v[5:6]
	v_add_co_ci_u32_e64 v39, s0, s23, v39, s0
	v_add_co_u32 v40, s0, s22, v40
	s_delay_alu instid0(VALU_DEP_1) | instskip(NEXT) | instid1(VALU_DEP_4)
	v_add_co_ci_u32_e64 v41, s0, s23, v41, s0
	v_add_co_u32 v42, s0, s22, v42
	s_delay_alu instid0(VALU_DEP_1)
	v_add_co_ci_u32_e64 v43, s0, s23, v43, s0
	s_waitcnt lgkmcnt(7)
	global_store_b32 v[17:18], v9, off
	s_waitcnt lgkmcnt(6)
	global_store_b32 v[7:8], v1, off
	;; [unrolled: 2-line block ×3, first 2 shown]
	s_waitcnt lgkmcnt(4)
	s_clause 0x1
	global_store_b32 v[15:16], v21, off
	global_store_b32 v[13:14], v10, off
	s_waitcnt lgkmcnt(3)
	global_store_b32 v[19:20], v45, off
	s_waitcnt lgkmcnt(2)
	;; [unrolled: 2-line block ×4, first 2 shown]
	global_store_b32 v[42:43], v47, off
	s_branch .LBB3_10
.LBB3_39:
	s_nop 0
	s_sendmsg sendmsg(MSG_DEALLOC_VGPRS)
	s_endpgm
	.section	.rodata,"a",@progbits
	.p2align	6, 0x0
	.amdhsa_kernel _ZN9rocsparseL39bsrgeam_wf_per_row_multipass_2_3_kernelILj256ELj3ELj64EfEEv20rocsparse_direction_iiiNS_24const_host_device_scalarIT2_EEPKiS6_PKS3_S4_S6_S6_S8_S6_PiPS3_21rocsparse_index_base_SB_SB_b
		.amdhsa_group_segment_fixed_size 9472
		.amdhsa_private_segment_fixed_size 0
		.amdhsa_kernarg_size 120
		.amdhsa_user_sgpr_count 15
		.amdhsa_user_sgpr_dispatch_ptr 0
		.amdhsa_user_sgpr_queue_ptr 0
		.amdhsa_user_sgpr_kernarg_segment_ptr 1
		.amdhsa_user_sgpr_dispatch_id 0
		.amdhsa_user_sgpr_private_segment_size 0
		.amdhsa_wavefront_size32 1
		.amdhsa_uses_dynamic_stack 0
		.amdhsa_enable_private_segment 0
		.amdhsa_system_sgpr_workgroup_id_x 1
		.amdhsa_system_sgpr_workgroup_id_y 0
		.amdhsa_system_sgpr_workgroup_id_z 0
		.amdhsa_system_sgpr_workgroup_info 0
		.amdhsa_system_vgpr_workitem_id 0
		.amdhsa_next_free_vgpr 53
		.amdhsa_next_free_sgpr 30
		.amdhsa_reserve_vcc 1
		.amdhsa_float_round_mode_32 0
		.amdhsa_float_round_mode_16_64 0
		.amdhsa_float_denorm_mode_32 3
		.amdhsa_float_denorm_mode_16_64 3
		.amdhsa_dx10_clamp 1
		.amdhsa_ieee_mode 1
		.amdhsa_fp16_overflow 0
		.amdhsa_workgroup_processor_mode 1
		.amdhsa_memory_ordered 1
		.amdhsa_forward_progress 0
		.amdhsa_shared_vgpr_count 0
		.amdhsa_exception_fp_ieee_invalid_op 0
		.amdhsa_exception_fp_denorm_src 0
		.amdhsa_exception_fp_ieee_div_zero 0
		.amdhsa_exception_fp_ieee_overflow 0
		.amdhsa_exception_fp_ieee_underflow 0
		.amdhsa_exception_fp_ieee_inexact 0
		.amdhsa_exception_int_div_zero 0
	.end_amdhsa_kernel
	.section	.text._ZN9rocsparseL39bsrgeam_wf_per_row_multipass_2_3_kernelILj256ELj3ELj64EfEEv20rocsparse_direction_iiiNS_24const_host_device_scalarIT2_EEPKiS6_PKS3_S4_S6_S6_S8_S6_PiPS3_21rocsparse_index_base_SB_SB_b,"axG",@progbits,_ZN9rocsparseL39bsrgeam_wf_per_row_multipass_2_3_kernelILj256ELj3ELj64EfEEv20rocsparse_direction_iiiNS_24const_host_device_scalarIT2_EEPKiS6_PKS3_S4_S6_S6_S8_S6_PiPS3_21rocsparse_index_base_SB_SB_b,comdat
.Lfunc_end3:
	.size	_ZN9rocsparseL39bsrgeam_wf_per_row_multipass_2_3_kernelILj256ELj3ELj64EfEEv20rocsparse_direction_iiiNS_24const_host_device_scalarIT2_EEPKiS6_PKS3_S4_S6_S6_S8_S6_PiPS3_21rocsparse_index_base_SB_SB_b, .Lfunc_end3-_ZN9rocsparseL39bsrgeam_wf_per_row_multipass_2_3_kernelILj256ELj3ELj64EfEEv20rocsparse_direction_iiiNS_24const_host_device_scalarIT2_EEPKiS6_PKS3_S4_S6_S6_S8_S6_PiPS3_21rocsparse_index_base_SB_SB_b
                                        ; -- End function
	.section	.AMDGPU.csdata,"",@progbits
; Kernel info:
; codeLenInByte = 3568
; NumSgprs: 32
; NumVgprs: 53
; ScratchSize: 0
; MemoryBound: 0
; FloatMode: 240
; IeeeMode: 1
; LDSByteSize: 9472 bytes/workgroup (compile time only)
; SGPRBlocks: 3
; VGPRBlocks: 6
; NumSGPRsForWavesPerEU: 32
; NumVGPRsForWavesPerEU: 53
; Occupancy: 16
; WaveLimiterHint : 1
; COMPUTE_PGM_RSRC2:SCRATCH_EN: 0
; COMPUTE_PGM_RSRC2:USER_SGPR: 15
; COMPUTE_PGM_RSRC2:TRAP_HANDLER: 0
; COMPUTE_PGM_RSRC2:TGID_X_EN: 1
; COMPUTE_PGM_RSRC2:TGID_Y_EN: 0
; COMPUTE_PGM_RSRC2:TGID_Z_EN: 0
; COMPUTE_PGM_RSRC2:TIDIG_COMP_CNT: 0
	.section	.text._ZN9rocsparseL35bsrgeam_wf_per_row_multipass_kernelILj64ELj4EfEEv20rocsparse_direction_iiiNS_24const_host_device_scalarIT1_EEPKiS6_PKS3_S4_S6_S6_S8_S6_PiPS3_21rocsparse_index_base_SB_SB_b,"axG",@progbits,_ZN9rocsparseL35bsrgeam_wf_per_row_multipass_kernelILj64ELj4EfEEv20rocsparse_direction_iiiNS_24const_host_device_scalarIT1_EEPKiS6_PKS3_S4_S6_S6_S8_S6_PiPS3_21rocsparse_index_base_SB_SB_b,comdat
	.globl	_ZN9rocsparseL35bsrgeam_wf_per_row_multipass_kernelILj64ELj4EfEEv20rocsparse_direction_iiiNS_24const_host_device_scalarIT1_EEPKiS6_PKS3_S4_S6_S6_S8_S6_PiPS3_21rocsparse_index_base_SB_SB_b ; -- Begin function _ZN9rocsparseL35bsrgeam_wf_per_row_multipass_kernelILj64ELj4EfEEv20rocsparse_direction_iiiNS_24const_host_device_scalarIT1_EEPKiS6_PKS3_S4_S6_S6_S8_S6_PiPS3_21rocsparse_index_base_SB_SB_b
	.p2align	8
	.type	_ZN9rocsparseL35bsrgeam_wf_per_row_multipass_kernelILj64ELj4EfEEv20rocsparse_direction_iiiNS_24const_host_device_scalarIT1_EEPKiS6_PKS3_S4_S6_S6_S8_S6_PiPS3_21rocsparse_index_base_SB_SB_b,@function
_ZN9rocsparseL35bsrgeam_wf_per_row_multipass_kernelILj64ELj4EfEEv20rocsparse_direction_iiiNS_24const_host_device_scalarIT1_EEPKiS6_PKS3_S4_S6_S6_S8_S6_PiPS3_21rocsparse_index_base_SB_SB_b: ; @_ZN9rocsparseL35bsrgeam_wf_per_row_multipass_kernelILj64ELj4EfEEv20rocsparse_direction_iiiNS_24const_host_device_scalarIT1_EEPKiS6_PKS3_S4_S6_S6_S8_S6_PiPS3_21rocsparse_index_base_SB_SB_b
; %bb.0:
	s_clause 0x2
	s_load_b128 s[4:7], s[0:1], 0x68
	s_load_b64 s[16:17], s[0:1], 0x10
	s_load_b64 s[18:19], s[0:1], 0x30
	s_waitcnt lgkmcnt(0)
	s_bitcmp1_b32 s7, 0
	s_cselect_b32 s2, -1, 0
	s_delay_alu instid0(SALU_CYCLE_1)
	s_and_b32 vcc_lo, exec_lo, s2
	s_xor_b32 s2, s2, -1
	s_cbranch_vccnz .LBB4_2
; %bb.1:
	s_load_b32 s16, s[16:17], 0x0
.LBB4_2:
	s_load_b64 s[12:13], s[0:1], 0x18
	s_and_not1_b32 vcc_lo, exec_lo, s2
	s_cbranch_vccnz .LBB4_4
; %bb.3:
	s_load_b32 s18, s[18:19], 0x0
.LBB4_4:
	s_load_b128 s[8:11], s[0:1], 0x0
	v_lshrrev_b32_e32 v9, 4, v0
	v_dual_mov_b32 v14, 0 :: v_dual_mov_b32 v1, 0
	s_delay_alu instid0(VALU_DEP_2) | instskip(NEXT) | instid1(VALU_DEP_1)
	v_lshl_or_b32 v6, s15, 2, v9
	v_ashrrev_i32_e32 v7, 31, v6
	s_waitcnt lgkmcnt(0)
	v_cmp_le_i32_e32 vcc_lo, s9, v6
	v_cmp_gt_i32_e64 s2, s9, v6
	s_delay_alu instid0(VALU_DEP_1)
	s_and_saveexec_b32 s7, s2
	s_cbranch_execz .LBB4_6
; %bb.5:
	v_lshlrev_b64 v[1:2], 2, v[6:7]
	s_delay_alu instid0(VALU_DEP_1) | instskip(NEXT) | instid1(VALU_DEP_1)
	v_add_co_u32 v1, s3, s12, v1
	v_add_co_ci_u32_e64 v2, s3, s13, v2, s3
	global_load_b32 v1, v[1:2], off
	s_waitcnt vmcnt(0)
	v_subrev_nc_u32_e32 v1, s4, v1
.LBB4_6:
	s_or_b32 exec_lo, exec_lo, s7
	s_load_b64 s[14:15], s[0:1], 0x38
	s_and_saveexec_b32 s7, s2
	s_cbranch_execz .LBB4_8
; %bb.7:
	v_lshlrev_b64 v[2:3], 2, v[6:7]
	s_delay_alu instid0(VALU_DEP_1) | instskip(NEXT) | instid1(VALU_DEP_1)
	v_add_co_u32 v2, s3, s12, v2
	v_add_co_ci_u32_e64 v3, s3, s13, v3, s3
	global_load_b32 v2, v[2:3], off offset:4
	s_waitcnt vmcnt(0)
	v_subrev_nc_u32_e32 v14, s4, v2
.LBB4_8:
	s_or_b32 exec_lo, exec_lo, s7
	v_mov_b32_e32 v15, 0
	v_mov_b32_e32 v3, 0
	s_and_saveexec_b32 s7, s2
	s_cbranch_execz .LBB4_10
; %bb.9:
	v_lshlrev_b64 v[2:3], 2, v[6:7]
	s_waitcnt lgkmcnt(0)
	s_delay_alu instid0(VALU_DEP_1) | instskip(NEXT) | instid1(VALU_DEP_1)
	v_add_co_u32 v2, s3, s14, v2
	v_add_co_ci_u32_e64 v3, s3, s15, v3, s3
	global_load_b32 v2, v[2:3], off
	s_waitcnt vmcnt(0)
	v_subrev_nc_u32_e32 v3, s5, v2
.LBB4_10:
	s_or_b32 exec_lo, exec_lo, s7
	s_and_saveexec_b32 s7, s2
	s_cbranch_execz .LBB4_12
; %bb.11:
	v_lshlrev_b64 v[4:5], 2, v[6:7]
	s_waitcnt lgkmcnt(0)
	s_delay_alu instid0(VALU_DEP_1) | instskip(NEXT) | instid1(VALU_DEP_1)
	v_add_co_u32 v4, s3, s14, v4
	v_add_co_ci_u32_e64 v5, s3, s15, v5, s3
	global_load_b32 v2, v[4:5], off offset:4
	s_waitcnt vmcnt(0)
	v_subrev_nc_u32_e32 v15, s5, v2
.LBB4_12:
	s_or_b32 exec_lo, exec_lo, s7
	s_load_b64 s[20:21], s[0:1], 0x20
	v_mov_b32_e32 v5, 0
	s_and_saveexec_b32 s3, s2
	s_cbranch_execz .LBB4_14
; %bb.13:
	s_load_b64 s[12:13], s[0:1], 0x50
	v_lshlrev_b64 v[4:5], 2, v[6:7]
	s_waitcnt lgkmcnt(0)
	s_delay_alu instid0(VALU_DEP_1) | instskip(NEXT) | instid1(VALU_DEP_1)
	v_add_co_u32 v4, s2, s12, v4
	v_add_co_ci_u32_e64 v5, s2, s13, v5, s2
	global_load_b32 v2, v[4:5], off
	s_waitcnt vmcnt(0)
	v_subrev_nc_u32_e32 v5, s6, v2
.LBB4_14:
	s_or_b32 exec_lo, exec_lo, s3
	s_load_b64 s[22:23], s[0:1], 0x40
	v_mov_b32_e32 v2, s10
	s_mov_b32 s3, exec_lo
	v_cmpx_lt_i32_e64 v1, v14
	s_cbranch_execz .LBB4_16
; %bb.15:
	v_ashrrev_i32_e32 v2, 31, v1
	s_delay_alu instid0(VALU_DEP_1) | instskip(SKIP_1) | instid1(VALU_DEP_1)
	v_lshlrev_b64 v[6:7], 2, v[1:2]
	s_waitcnt lgkmcnt(0)
	v_add_co_u32 v6, s2, s20, v6
	s_delay_alu instid0(VALU_DEP_1)
	v_add_co_ci_u32_e64 v7, s2, s21, v7, s2
	global_load_b32 v2, v[6:7], off
	s_waitcnt vmcnt(0)
	v_subrev_nc_u32_e32 v2, s4, v2
.LBB4_16:
	s_or_b32 exec_lo, exec_lo, s3
	v_mov_b32_e32 v4, s10
	s_mov_b32 s3, exec_lo
	v_cmpx_lt_i32_e64 v3, v15
	s_cbranch_execz .LBB4_18
; %bb.17:
	v_ashrrev_i32_e32 v4, 31, v3
	s_delay_alu instid0(VALU_DEP_1) | instskip(SKIP_1) | instid1(VALU_DEP_1)
	v_lshlrev_b64 v[6:7], 2, v[3:4]
	s_waitcnt lgkmcnt(0)
	v_add_co_u32 v6, s2, s22, v6
	s_delay_alu instid0(VALU_DEP_1)
	v_add_co_ci_u32_e64 v7, s2, s23, v7, s2
	global_load_b32 v4, v[6:7], off
	s_waitcnt vmcnt(0)
	v_subrev_nc_u32_e32 v4, s5, v4
.LBB4_18:
	s_or_b32 exec_lo, exec_lo, s3
	v_cndmask_b32_e64 v7, 0, 1, vcc_lo
	v_lshlrev_b32_e32 v6, 2, v9
	v_mov_b32_e32 v16, 0
	ds_store_b32 v6, v7 offset:256
	s_waitcnt lgkmcnt(0)
	s_barrier
	buffer_gl0_inv
	ds_load_b32 v7, v16 offset:256
	s_waitcnt lgkmcnt(0)
	v_cmp_lt_u32_e32 vcc_lo, 3, v7
	s_cbranch_vccnz .LBB4_58
; %bb.19:
	v_dual_mov_b32 v24, 1 :: v_dual_and_b32 v7, 3, v0
	v_bfe_u32 v8, v0, 2, 2
	s_cmp_eq_u32 s8, 0
	s_clause 0x2
	s_load_b128 s[12:15], s[0:1], 0x58
	s_load_b64 s[24:25], s[0:1], 0x28
	s_load_b64 s[26:27], s[0:1], 0x48
	v_or_b32_e32 v17, 0x100, v6
	v_lshlrev_b32_e32 v10, 2, v8
	v_lshlrev_b32_e32 v11, 2, v7
	s_cselect_b32 vcc_lo, -1, 0
	v_and_b32_e32 v6, 48, v0
	v_min_i32_e32 v25, v4, v2
	v_max_i32_e32 v2, v8, v7
	v_lshlrev_b32_e32 v19, 2, v0
	v_lshl_or_b32 v18, v9, 2, 0x110
	v_or3_b32 v4, v10, v6, v7
	v_or3_b32 v6, v11, v6, v8
	v_cmp_gt_i32_e64 s0, s11, v2
	v_cmp_gt_u32_e64 s1, 2, v0
	v_cmp_eq_u32_e64 s2, 0, v0
	v_cndmask_b32_e32 v0, v8, v7, vcc_lo
	v_lshlrev_b32_e32 v20, 2, v4
	v_lshlrev_b32_e32 v21, 2, v6
	v_or_b32_e32 v22, 0x100, v19
	v_cndmask_b32_e32 v9, v7, v8, vcc_lo
	s_cmp_lg_u32 s8, 0
	s_mul_i32 s8, s11, s11
	v_cndmask_b32_e32 v23, v20, v21, vcc_lo
	s_cselect_b32 s7, -1, 0
	s_branch .LBB4_21
.LBB4_20:                               ;   in Loop: Header=BB4_21 Depth=1
	s_or_b32 exec_lo, exec_lo, s3
	s_waitcnt lgkmcnt(0)
	s_barrier
	buffer_gl0_inv
	ds_load_b32 v4, v16 offset:256
	v_add_nc_u32_e32 v5, 1, v5
	v_mov_b32_e32 v25, v2
	s_waitcnt lgkmcnt(0)
	v_cmp_gt_u32_e32 vcc_lo, 4, v4
	s_cbranch_vccz .LBB4_58
.LBB4_21:                               ; =>This Loop Header: Depth=1
                                        ;     Child Loop BB4_24 Depth 2
                                        ;     Child Loop BB4_39 Depth 2
	v_mov_b32_e32 v2, s10
	s_mov_b32 s9, exec_lo
	ds_store_b32 v18, v16
	ds_store_b32 v19, v16
	s_waitcnt lgkmcnt(0)
	s_barrier
	buffer_gl0_inv
	v_cmpx_lt_i32_e64 v1, v14
	s_cbranch_execz .LBB4_36
; %bb.22:                               ;   in Loop: Header=BB4_21 Depth=1
	v_mul_lo_u32 v4, s11, v1
	v_ashrrev_i32_e32 v2, 31, v1
	s_mov_b32 s17, 0
	s_mov_b32 s19, 0
	s_delay_alu instid0(VALU_DEP_1) | instskip(SKIP_1) | instid1(VALU_DEP_4)
	v_lshlrev_b64 v[26:27], 2, v[1:2]
	v_mov_b32_e32 v2, s10
	v_add_nc_u32_e32 v6, v7, v4
	v_add_nc_u32_e32 v4, v8, v4
	s_delay_alu instid0(VALU_DEP_2) | instskip(NEXT) | instid1(VALU_DEP_2)
	v_mad_u64_u32 v[10:11], null, s11, v6, v[8:9]
	v_mad_u64_u32 v[11:12], null, s11, v4, v[7:8]
	v_add_co_u32 v12, vcc_lo, s20, v26
	v_add_co_ci_u32_e32 v13, vcc_lo, s21, v27, vcc_lo
	s_branch .LBB4_24
.LBB4_23:                               ;   in Loop: Header=BB4_24 Depth=2
	s_or_b32 exec_lo, exec_lo, s28
	v_dual_mov_b32 v6, v1 :: v_dual_mov_b32 v1, v4
	s_and_b32 s3, exec_lo, s29
	s_delay_alu instid0(SALU_CYCLE_1) | instskip(NEXT) | instid1(SALU_CYCLE_1)
	s_or_b32 s17, s3, s17
	s_and_not1_b32 exec_lo, exec_lo, s17
	s_cbranch_execz .LBB4_35
.LBB4_24:                               ;   Parent Loop BB4_21 Depth=1
                                        ; =>  This Inner Loop Header: Depth=2
	global_load_b32 v4, v[12:13], off
	s_waitcnt vmcnt(0)
	v_subrev_nc_u32_e32 v4, s4, v4
	s_delay_alu instid0(VALU_DEP_1) | instskip(NEXT) | instid1(VALU_DEP_1)
	v_cmp_le_i32_e64 s3, v4, v25
	s_and_saveexec_b32 s28, s3
	s_delay_alu instid0(SALU_CYCLE_1)
	s_xor_b32 s28, exec_lo, s28
	s_cbranch_execz .LBB4_28
; %bb.25:                               ;   in Loop: Header=BB4_24 Depth=2
	ds_store_b32 v18, v24
	s_and_saveexec_b32 s29, s0
	s_cbranch_execz .LBB4_34
; %bb.26:                               ;   in Loop: Header=BB4_24 Depth=2
	s_and_b32 vcc_lo, exec_lo, s7
	s_cbranch_vccz .LBB4_32
; %bb.27:                               ;   in Loop: Header=BB4_24 Depth=2
	v_add_nc_u32_e32 v26, s19, v11
	s_delay_alu instid0(VALU_DEP_1) | instskip(NEXT) | instid1(VALU_DEP_1)
	v_ashrrev_i32_e32 v27, 31, v26
	v_lshlrev_b64 v[26:27], 2, v[26:27]
	s_delay_alu instid0(VALU_DEP_1) | instskip(NEXT) | instid1(VALU_DEP_2)
	v_add_co_u32 v26, vcc_lo, s24, v26
	v_add_co_ci_u32_e32 v27, vcc_lo, s25, v27, vcc_lo
	global_load_b32 v4, v[26:27], off
	s_waitcnt vmcnt(0)
	v_mul_f32_e32 v4, s16, v4
	ds_store_b32 v20, v4
	s_cbranch_execz .LBB4_33
	s_branch .LBB4_34
.LBB4_28:                               ;   in Loop: Header=BB4_24 Depth=2
	s_and_not1_saveexec_b32 s28, s28
.LBB4_29:                               ;   in Loop: Header=BB4_24 Depth=2
	v_min_i32_e32 v2, v4, v2
.LBB4_30:                               ;   in Loop: Header=BB4_24 Depth=2
	s_or_b32 exec_lo, exec_lo, s28
	s_mov_b32 s29, -1
                                        ; implicit-def: $vgpr4
	s_and_saveexec_b32 s28, s3
	s_cbranch_execz .LBB4_23
; %bb.31:                               ;   in Loop: Header=BB4_24 Depth=2
	v_dual_mov_b32 v1, v14 :: v_dual_add_nc_u32 v4, 1, v1
	v_add_co_u32 v12, s3, v12, 4
	s_delay_alu instid0(VALU_DEP_1) | instskip(NEXT) | instid1(VALU_DEP_3)
	v_add_co_ci_u32_e64 v13, s3, 0, v13, s3
	v_cmp_ge_i32_e32 vcc_lo, v4, v14
	s_add_i32 s19, s19, s8
	s_or_not1_b32 s29, vcc_lo, exec_lo
	s_branch .LBB4_23
.LBB4_32:                               ;   in Loop: Header=BB4_24 Depth=2
.LBB4_33:                               ;   in Loop: Header=BB4_24 Depth=2
	v_add_nc_u32_e32 v26, s19, v10
	s_delay_alu instid0(VALU_DEP_1) | instskip(NEXT) | instid1(VALU_DEP_1)
	v_ashrrev_i32_e32 v27, 31, v26
	v_lshlrev_b64 v[26:27], 2, v[26:27]
	s_delay_alu instid0(VALU_DEP_1) | instskip(NEXT) | instid1(VALU_DEP_2)
	v_add_co_u32 v26, vcc_lo, s24, v26
	v_add_co_ci_u32_e32 v27, vcc_lo, s25, v27, vcc_lo
	global_load_b32 v4, v[26:27], off
	s_waitcnt vmcnt(0)
	v_mul_f32_e32 v4, s16, v4
	ds_store_b32 v21, v4
.LBB4_34:                               ;   in Loop: Header=BB4_24 Depth=2
	s_or_b32 exec_lo, exec_lo, s29
                                        ; implicit-def: $vgpr4
	s_and_not1_saveexec_b32 s28, s28
	s_cbranch_execz .LBB4_30
	s_branch .LBB4_29
.LBB4_35:                               ;   in Loop: Header=BB4_21 Depth=1
	s_or_b32 exec_lo, exec_lo, s17
	v_mov_b32_e32 v1, v6
.LBB4_36:                               ;   in Loop: Header=BB4_21 Depth=1
	s_or_b32 exec_lo, exec_lo, s9
	s_delay_alu instid0(SALU_CYCLE_1)
	s_mov_b32 s9, exec_lo
	s_waitcnt lgkmcnt(0)
	s_barrier
	buffer_gl0_inv
	v_cmpx_lt_i32_e64 v3, v15
	s_cbranch_execz .LBB4_51
; %bb.37:                               ;   in Loop: Header=BB4_21 Depth=1
	v_mul_lo_u32 v6, s11, v3
	v_ashrrev_i32_e32 v4, 31, v3
	s_mov_b32 s17, 0
	s_mov_b32 s19, 0
	s_delay_alu instid0(VALU_DEP_1) | instskip(NEXT) | instid1(VALU_DEP_3)
	v_lshlrev_b64 v[26:27], 2, v[3:4]
	v_add_nc_u32_e32 v12, v7, v6
	v_add_nc_u32_e32 v6, v8, v6
	s_delay_alu instid0(VALU_DEP_2) | instskip(NEXT) | instid1(VALU_DEP_2)
	v_mad_u64_u32 v[10:11], null, s11, v12, v[8:9]
	v_mad_u64_u32 v[11:12], null, s11, v6, v[7:8]
	v_add_co_u32 v12, vcc_lo, s22, v26
	v_add_co_ci_u32_e32 v13, vcc_lo, s23, v27, vcc_lo
	s_branch .LBB4_39
.LBB4_38:                               ;   in Loop: Header=BB4_39 Depth=2
	s_or_b32 exec_lo, exec_lo, s28
	v_dual_mov_b32 v6, v3 :: v_dual_mov_b32 v3, v4
	s_and_b32 s3, exec_lo, s29
	s_delay_alu instid0(SALU_CYCLE_1) | instskip(NEXT) | instid1(SALU_CYCLE_1)
	s_or_b32 s17, s3, s17
	s_and_not1_b32 exec_lo, exec_lo, s17
	s_cbranch_execz .LBB4_50
.LBB4_39:                               ;   Parent Loop BB4_21 Depth=1
                                        ; =>  This Inner Loop Header: Depth=2
	global_load_b32 v4, v[12:13], off
	s_waitcnt vmcnt(0)
	v_subrev_nc_u32_e32 v4, s5, v4
	s_delay_alu instid0(VALU_DEP_1) | instskip(NEXT) | instid1(VALU_DEP_1)
	v_cmp_le_i32_e64 s3, v4, v25
	s_and_saveexec_b32 s28, s3
	s_delay_alu instid0(SALU_CYCLE_1)
	s_xor_b32 s28, exec_lo, s28
	s_cbranch_execz .LBB4_43
; %bb.40:                               ;   in Loop: Header=BB4_39 Depth=2
	ds_store_b32 v18, v24
	s_and_saveexec_b32 s29, s0
	s_cbranch_execz .LBB4_49
; %bb.41:                               ;   in Loop: Header=BB4_39 Depth=2
	s_and_b32 vcc_lo, exec_lo, s7
	s_cbranch_vccz .LBB4_47
; %bb.42:                               ;   in Loop: Header=BB4_39 Depth=2
	v_add_nc_u32_e32 v26, s19, v11
	ds_load_b32 v6, v20
	v_ashrrev_i32_e32 v27, 31, v26
	s_delay_alu instid0(VALU_DEP_1) | instskip(NEXT) | instid1(VALU_DEP_1)
	v_lshlrev_b64 v[26:27], 2, v[26:27]
	v_add_co_u32 v26, vcc_lo, s26, v26
	s_delay_alu instid0(VALU_DEP_2)
	v_add_co_ci_u32_e32 v27, vcc_lo, s27, v27, vcc_lo
	global_load_b32 v4, v[26:27], off
	s_waitcnt vmcnt(0) lgkmcnt(0)
	v_fmac_f32_e32 v6, s18, v4
	ds_store_b32 v20, v6
	s_cbranch_execz .LBB4_48
	s_branch .LBB4_49
.LBB4_43:                               ;   in Loop: Header=BB4_39 Depth=2
	s_and_not1_saveexec_b32 s28, s28
.LBB4_44:                               ;   in Loop: Header=BB4_39 Depth=2
	v_min_i32_e32 v2, v4, v2
.LBB4_45:                               ;   in Loop: Header=BB4_39 Depth=2
	s_or_b32 exec_lo, exec_lo, s28
	s_mov_b32 s29, -1
                                        ; implicit-def: $vgpr4
	s_and_saveexec_b32 s28, s3
	s_cbranch_execz .LBB4_38
; %bb.46:                               ;   in Loop: Header=BB4_39 Depth=2
	v_dual_mov_b32 v3, v15 :: v_dual_add_nc_u32 v4, 1, v3
	v_add_co_u32 v12, s3, v12, 4
	s_delay_alu instid0(VALU_DEP_1) | instskip(NEXT) | instid1(VALU_DEP_3)
	v_add_co_ci_u32_e64 v13, s3, 0, v13, s3
	v_cmp_ge_i32_e32 vcc_lo, v4, v15
	s_add_i32 s19, s19, s8
	s_or_not1_b32 s29, vcc_lo, exec_lo
	s_branch .LBB4_38
.LBB4_47:                               ;   in Loop: Header=BB4_39 Depth=2
.LBB4_48:                               ;   in Loop: Header=BB4_39 Depth=2
	v_add_nc_u32_e32 v26, s19, v10
	ds_load_b32 v6, v21
	v_ashrrev_i32_e32 v27, 31, v26
	s_delay_alu instid0(VALU_DEP_1) | instskip(NEXT) | instid1(VALU_DEP_1)
	v_lshlrev_b64 v[26:27], 2, v[26:27]
	v_add_co_u32 v26, vcc_lo, s26, v26
	s_delay_alu instid0(VALU_DEP_2)
	v_add_co_ci_u32_e32 v27, vcc_lo, s27, v27, vcc_lo
	global_load_b32 v4, v[26:27], off
	s_waitcnt vmcnt(0) lgkmcnt(0)
	v_fmac_f32_e32 v6, s18, v4
	ds_store_b32 v21, v6
.LBB4_49:                               ;   in Loop: Header=BB4_39 Depth=2
	s_or_b32 exec_lo, exec_lo, s29
                                        ; implicit-def: $vgpr4
	s_and_not1_saveexec_b32 s28, s28
	s_cbranch_execz .LBB4_45
	s_branch .LBB4_44
.LBB4_50:                               ;   in Loop: Header=BB4_21 Depth=1
	s_or_b32 exec_lo, exec_lo, s17
	v_mov_b32_e32 v3, v6
.LBB4_51:                               ;   in Loop: Header=BB4_21 Depth=1
	s_or_b32 exec_lo, exec_lo, s9
	s_waitcnt lgkmcnt(0)
	s_barrier
	buffer_gl0_inv
	ds_load_b32 v4, v18
	s_mov_b32 s3, exec_lo
	s_waitcnt lgkmcnt(0)
	v_cmpx_ne_u32_e32 0, v4
	s_cbranch_execz .LBB4_54
; %bb.52:                               ;   in Loop: Header=BB4_21 Depth=1
	v_ashrrev_i32_e32 v6, 31, v5
	v_add_nc_u32_e32 v4, s6, v25
	s_delay_alu instid0(VALU_DEP_2) | instskip(NEXT) | instid1(VALU_DEP_1)
	v_lshlrev_b64 v[10:11], 2, v[5:6]
	v_add_co_u32 v10, vcc_lo, s12, v10
	s_delay_alu instid0(VALU_DEP_2)
	v_add_co_ci_u32_e32 v11, vcc_lo, s13, v11, vcc_lo
	global_store_b32 v[10:11], v4, off
	s_and_b32 exec_lo, exec_lo, s0
	s_cbranch_execz .LBB4_54
; %bb.53:                               ;   in Loop: Header=BB4_21 Depth=1
	v_mad_u64_u32 v[10:11], null, v5, s11, v[0:1]
	ds_load_b32 v4, v23
	v_mad_u64_u32 v[11:12], null, v10, s11, v[9:10]
	s_delay_alu instid0(VALU_DEP_1) | instskip(NEXT) | instid1(VALU_DEP_1)
	v_ashrrev_i32_e32 v12, 31, v11
	v_lshlrev_b64 v[10:11], 2, v[11:12]
	s_delay_alu instid0(VALU_DEP_1) | instskip(NEXT) | instid1(VALU_DEP_2)
	v_add_co_u32 v10, vcc_lo, s14, v10
	v_add_co_ci_u32_e32 v11, vcc_lo, s15, v11, vcc_lo
	s_waitcnt lgkmcnt(0)
	global_store_b32 v[10:11], v4, off
.LBB4_54:                               ;   in Loop: Header=BB4_21 Depth=1
	s_or_b32 exec_lo, exec_lo, s3
	v_cmp_le_i32_e32 vcc_lo, s10, v2
	s_waitcnt_vscnt null, 0x0
	s_barrier
	buffer_gl0_inv
	v_cndmask_b32_e64 v4, 0, 1, vcc_lo
	s_barrier
	buffer_gl0_inv
	ds_store_b32 v17, v4
	s_waitcnt lgkmcnt(0)
	s_barrier
	buffer_gl0_inv
	s_and_saveexec_b32 s3, s1
	s_cbranch_execz .LBB4_56
; %bb.55:                               ;   in Loop: Header=BB4_21 Depth=1
	ds_load_2addr_b32 v[10:11], v22 offset1:2
	s_waitcnt lgkmcnt(0)
	v_add_nc_u32_e32 v4, v11, v10
	ds_store_b32 v22, v4
.LBB4_56:                               ;   in Loop: Header=BB4_21 Depth=1
	s_or_b32 exec_lo, exec_lo, s3
	s_waitcnt lgkmcnt(0)
	s_barrier
	buffer_gl0_inv
	s_and_saveexec_b32 s3, s2
	s_cbranch_execz .LBB4_20
; %bb.57:                               ;   in Loop: Header=BB4_21 Depth=1
	ds_load_b64 v[10:11], v16 offset:256
	s_waitcnt lgkmcnt(0)
	v_add_nc_u32_e32 v4, v11, v10
	ds_store_b32 v16, v4 offset:256
	s_branch .LBB4_20
.LBB4_58:
	s_endpgm
	.section	.rodata,"a",@progbits
	.p2align	6, 0x0
	.amdhsa_kernel _ZN9rocsparseL35bsrgeam_wf_per_row_multipass_kernelILj64ELj4EfEEv20rocsparse_direction_iiiNS_24const_host_device_scalarIT1_EEPKiS6_PKS3_S4_S6_S6_S8_S6_PiPS3_21rocsparse_index_base_SB_SB_b
		.amdhsa_group_segment_fixed_size 288
		.amdhsa_private_segment_fixed_size 0
		.amdhsa_kernarg_size 120
		.amdhsa_user_sgpr_count 15
		.amdhsa_user_sgpr_dispatch_ptr 0
		.amdhsa_user_sgpr_queue_ptr 0
		.amdhsa_user_sgpr_kernarg_segment_ptr 1
		.amdhsa_user_sgpr_dispatch_id 0
		.amdhsa_user_sgpr_private_segment_size 0
		.amdhsa_wavefront_size32 1
		.amdhsa_uses_dynamic_stack 0
		.amdhsa_enable_private_segment 0
		.amdhsa_system_sgpr_workgroup_id_x 1
		.amdhsa_system_sgpr_workgroup_id_y 0
		.amdhsa_system_sgpr_workgroup_id_z 0
		.amdhsa_system_sgpr_workgroup_info 0
		.amdhsa_system_vgpr_workitem_id 0
		.amdhsa_next_free_vgpr 28
		.amdhsa_next_free_sgpr 30
		.amdhsa_reserve_vcc 1
		.amdhsa_float_round_mode_32 0
		.amdhsa_float_round_mode_16_64 0
		.amdhsa_float_denorm_mode_32 3
		.amdhsa_float_denorm_mode_16_64 3
		.amdhsa_dx10_clamp 1
		.amdhsa_ieee_mode 1
		.amdhsa_fp16_overflow 0
		.amdhsa_workgroup_processor_mode 1
		.amdhsa_memory_ordered 1
		.amdhsa_forward_progress 0
		.amdhsa_shared_vgpr_count 0
		.amdhsa_exception_fp_ieee_invalid_op 0
		.amdhsa_exception_fp_denorm_src 0
		.amdhsa_exception_fp_ieee_div_zero 0
		.amdhsa_exception_fp_ieee_overflow 0
		.amdhsa_exception_fp_ieee_underflow 0
		.amdhsa_exception_fp_ieee_inexact 0
		.amdhsa_exception_int_div_zero 0
	.end_amdhsa_kernel
	.section	.text._ZN9rocsparseL35bsrgeam_wf_per_row_multipass_kernelILj64ELj4EfEEv20rocsparse_direction_iiiNS_24const_host_device_scalarIT1_EEPKiS6_PKS3_S4_S6_S6_S8_S6_PiPS3_21rocsparse_index_base_SB_SB_b,"axG",@progbits,_ZN9rocsparseL35bsrgeam_wf_per_row_multipass_kernelILj64ELj4EfEEv20rocsparse_direction_iiiNS_24const_host_device_scalarIT1_EEPKiS6_PKS3_S4_S6_S6_S8_S6_PiPS3_21rocsparse_index_base_SB_SB_b,comdat
.Lfunc_end4:
	.size	_ZN9rocsparseL35bsrgeam_wf_per_row_multipass_kernelILj64ELj4EfEEv20rocsparse_direction_iiiNS_24const_host_device_scalarIT1_EEPKiS6_PKS3_S4_S6_S6_S8_S6_PiPS3_21rocsparse_index_base_SB_SB_b, .Lfunc_end4-_ZN9rocsparseL35bsrgeam_wf_per_row_multipass_kernelILj64ELj4EfEEv20rocsparse_direction_iiiNS_24const_host_device_scalarIT1_EEPKiS6_PKS3_S4_S6_S6_S8_S6_PiPS3_21rocsparse_index_base_SB_SB_b
                                        ; -- End function
	.section	.AMDGPU.csdata,"",@progbits
; Kernel info:
; codeLenInByte = 2156
; NumSgprs: 32
; NumVgprs: 28
; ScratchSize: 0
; MemoryBound: 0
; FloatMode: 240
; IeeeMode: 1
; LDSByteSize: 288 bytes/workgroup (compile time only)
; SGPRBlocks: 3
; VGPRBlocks: 3
; NumSGPRsForWavesPerEU: 32
; NumVGPRsForWavesPerEU: 28
; Occupancy: 16
; WaveLimiterHint : 0
; COMPUTE_PGM_RSRC2:SCRATCH_EN: 0
; COMPUTE_PGM_RSRC2:USER_SGPR: 15
; COMPUTE_PGM_RSRC2:TRAP_HANDLER: 0
; COMPUTE_PGM_RSRC2:TGID_X_EN: 1
; COMPUTE_PGM_RSRC2:TGID_Y_EN: 0
; COMPUTE_PGM_RSRC2:TGID_Z_EN: 0
; COMPUTE_PGM_RSRC2:TIDIG_COMP_CNT: 0
	.section	.text._ZN9rocsparseL35bsrgeam_wf_per_row_multipass_kernelILj64ELj8EfEEv20rocsparse_direction_iiiNS_24const_host_device_scalarIT1_EEPKiS6_PKS3_S4_S6_S6_S8_S6_PiPS3_21rocsparse_index_base_SB_SB_b,"axG",@progbits,_ZN9rocsparseL35bsrgeam_wf_per_row_multipass_kernelILj64ELj8EfEEv20rocsparse_direction_iiiNS_24const_host_device_scalarIT1_EEPKiS6_PKS3_S4_S6_S6_S8_S6_PiPS3_21rocsparse_index_base_SB_SB_b,comdat
	.globl	_ZN9rocsparseL35bsrgeam_wf_per_row_multipass_kernelILj64ELj8EfEEv20rocsparse_direction_iiiNS_24const_host_device_scalarIT1_EEPKiS6_PKS3_S4_S6_S6_S8_S6_PiPS3_21rocsparse_index_base_SB_SB_b ; -- Begin function _ZN9rocsparseL35bsrgeam_wf_per_row_multipass_kernelILj64ELj8EfEEv20rocsparse_direction_iiiNS_24const_host_device_scalarIT1_EEPKiS6_PKS3_S4_S6_S6_S8_S6_PiPS3_21rocsparse_index_base_SB_SB_b
	.p2align	8
	.type	_ZN9rocsparseL35bsrgeam_wf_per_row_multipass_kernelILj64ELj8EfEEv20rocsparse_direction_iiiNS_24const_host_device_scalarIT1_EEPKiS6_PKS3_S4_S6_S6_S8_S6_PiPS3_21rocsparse_index_base_SB_SB_b,@function
_ZN9rocsparseL35bsrgeam_wf_per_row_multipass_kernelILj64ELj8EfEEv20rocsparse_direction_iiiNS_24const_host_device_scalarIT1_EEPKiS6_PKS3_S4_S6_S6_S8_S6_PiPS3_21rocsparse_index_base_SB_SB_b: ; @_ZN9rocsparseL35bsrgeam_wf_per_row_multipass_kernelILj64ELj8EfEEv20rocsparse_direction_iiiNS_24const_host_device_scalarIT1_EEPKiS6_PKS3_S4_S6_S6_S8_S6_PiPS3_21rocsparse_index_base_SB_SB_b
; %bb.0:
	s_clause 0x2
	s_load_b128 s[4:7], s[0:1], 0x68
	s_load_b64 s[2:3], s[0:1], 0x10
	s_load_b64 s[16:17], s[0:1], 0x30
	s_waitcnt lgkmcnt(0)
	s_bitcmp1_b32 s7, 0
	s_cselect_b32 s7, -1, 0
	s_delay_alu instid0(SALU_CYCLE_1)
	s_and_b32 vcc_lo, exec_lo, s7
	s_xor_b32 s7, s7, -1
	s_cbranch_vccnz .LBB5_2
; %bb.1:
	s_load_b32 s2, s[2:3], 0x0
.LBB5_2:
	s_load_b64 s[12:13], s[0:1], 0x18
	s_and_not1_b32 vcc_lo, exec_lo, s7
	s_cbranch_vccnz .LBB5_4
; %bb.3:
	s_load_b32 s16, s[16:17], 0x0
.LBB5_4:
	s_load_b128 s[8:11], s[0:1], 0x0
	v_dual_mov_b32 v4, s15 :: v_dual_mov_b32 v1, 0
	v_mov_b32_e32 v14, 0
	s_waitcnt lgkmcnt(0)
	s_cmp_ge_i32 s15, s9
	s_cselect_b32 s3, -1, 0
	s_cmp_lt_i32 s15, s9
	s_cselect_b32 s7, -1, 0
	s_delay_alu instid0(SALU_CYCLE_1)
	s_and_saveexec_b32 s9, s7
	s_cbranch_execz .LBB5_6
; %bb.5:
	v_ashrrev_i32_e64 v5, 31, s15
	s_delay_alu instid0(VALU_DEP_1) | instskip(NEXT) | instid1(VALU_DEP_1)
	v_lshlrev_b64 v[1:2], 2, v[4:5]
	v_add_co_u32 v1, vcc_lo, s12, v1
	s_delay_alu instid0(VALU_DEP_2)
	v_add_co_ci_u32_e32 v2, vcc_lo, s13, v2, vcc_lo
	global_load_b32 v1, v[1:2], off
	s_waitcnt vmcnt(0)
	v_subrev_nc_u32_e32 v1, s4, v1
.LBB5_6:
	s_or_b32 exec_lo, exec_lo, s9
	s_load_b64 s[18:19], s[0:1], 0x38
	s_and_saveexec_b32 s9, s7
	s_cbranch_execz .LBB5_8
; %bb.7:
	v_ashrrev_i32_e64 v5, 31, s15
	s_delay_alu instid0(VALU_DEP_1) | instskip(NEXT) | instid1(VALU_DEP_1)
	v_lshlrev_b64 v[2:3], 2, v[4:5]
	v_add_co_u32 v2, vcc_lo, s12, v2
	s_delay_alu instid0(VALU_DEP_2)
	v_add_co_ci_u32_e32 v3, vcc_lo, s13, v3, vcc_lo
	global_load_b32 v2, v[2:3], off offset:4
	s_waitcnt vmcnt(0)
	v_subrev_nc_u32_e32 v14, s4, v2
.LBB5_8:
	s_or_b32 exec_lo, exec_lo, s9
	v_mov_b32_e32 v15, 0
	v_mov_b32_e32 v3, 0
	s_and_saveexec_b32 s9, s7
	s_cbranch_execz .LBB5_10
; %bb.9:
	v_ashrrev_i32_e64 v5, 31, s15
	s_delay_alu instid0(VALU_DEP_1) | instskip(SKIP_1) | instid1(VALU_DEP_1)
	v_lshlrev_b64 v[2:3], 2, v[4:5]
	s_waitcnt lgkmcnt(0)
	v_add_co_u32 v2, vcc_lo, s18, v2
	s_delay_alu instid0(VALU_DEP_2)
	v_add_co_ci_u32_e32 v3, vcc_lo, s19, v3, vcc_lo
	global_load_b32 v2, v[2:3], off
	s_waitcnt vmcnt(0)
	v_subrev_nc_u32_e32 v3, s5, v2
.LBB5_10:
	s_or_b32 exec_lo, exec_lo, s9
	s_and_saveexec_b32 s9, s7
	s_cbranch_execz .LBB5_12
; %bb.11:
	v_ashrrev_i32_e64 v5, 31, s15
	s_delay_alu instid0(VALU_DEP_1) | instskip(SKIP_1) | instid1(VALU_DEP_1)
	v_lshlrev_b64 v[5:6], 2, v[4:5]
	s_waitcnt lgkmcnt(0)
	v_add_co_u32 v5, vcc_lo, s18, v5
	s_delay_alu instid0(VALU_DEP_2)
	v_add_co_ci_u32_e32 v6, vcc_lo, s19, v6, vcc_lo
	global_load_b32 v2, v[5:6], off offset:4
	s_waitcnt vmcnt(0)
	v_subrev_nc_u32_e32 v15, s5, v2
.LBB5_12:
	s_or_b32 exec_lo, exec_lo, s9
	s_waitcnt lgkmcnt(0)
	s_load_b64 s[18:19], s[0:1], 0x20
	v_mov_b32_e32 v5, 0
	s_and_saveexec_b32 s9, s7
	s_cbranch_execz .LBB5_14
; %bb.13:
	s_load_b64 s[12:13], s[0:1], 0x50
	v_ashrrev_i32_e64 v5, 31, s15
	s_delay_alu instid0(VALU_DEP_1) | instskip(SKIP_1) | instid1(VALU_DEP_1)
	v_lshlrev_b64 v[4:5], 2, v[4:5]
	s_waitcnt lgkmcnt(0)
	v_add_co_u32 v4, vcc_lo, s12, v4
	s_delay_alu instid0(VALU_DEP_2)
	v_add_co_ci_u32_e32 v5, vcc_lo, s13, v5, vcc_lo
	global_load_b32 v2, v[4:5], off
	s_waitcnt vmcnt(0)
	v_subrev_nc_u32_e32 v5, s6, v2
.LBB5_14:
	s_or_b32 exec_lo, exec_lo, s9
	s_load_b64 s[20:21], s[0:1], 0x40
	v_mov_b32_e32 v2, s10
	s_mov_b32 s7, exec_lo
	v_cmpx_lt_i32_e64 v1, v14
	s_cbranch_execz .LBB5_16
; %bb.15:
	v_ashrrev_i32_e32 v2, 31, v1
	s_delay_alu instid0(VALU_DEP_1) | instskip(SKIP_1) | instid1(VALU_DEP_1)
	v_lshlrev_b64 v[6:7], 2, v[1:2]
	s_waitcnt lgkmcnt(0)
	v_add_co_u32 v6, vcc_lo, s18, v6
	s_delay_alu instid0(VALU_DEP_2)
	v_add_co_ci_u32_e32 v7, vcc_lo, s19, v7, vcc_lo
	global_load_b32 v2, v[6:7], off
	s_waitcnt vmcnt(0)
	v_subrev_nc_u32_e32 v2, s4, v2
.LBB5_16:
	s_or_b32 exec_lo, exec_lo, s7
	v_mov_b32_e32 v4, s10
	s_mov_b32 s7, exec_lo
	v_cmpx_lt_i32_e64 v3, v15
	s_cbranch_execz .LBB5_18
; %bb.17:
	v_ashrrev_i32_e32 v4, 31, v3
	s_delay_alu instid0(VALU_DEP_1) | instskip(SKIP_1) | instid1(VALU_DEP_1)
	v_lshlrev_b64 v[6:7], 2, v[3:4]
	s_waitcnt lgkmcnt(0)
	v_add_co_u32 v6, vcc_lo, s20, v6
	s_delay_alu instid0(VALU_DEP_2)
	v_add_co_ci_u32_e32 v7, vcc_lo, s21, v7, vcc_lo
	global_load_b32 v4, v[6:7], off
	s_waitcnt vmcnt(0)
	v_subrev_nc_u32_e32 v4, s5, v4
.LBB5_18:
	s_or_b32 exec_lo, exec_lo, s7
	v_cndmask_b32_e64 v6, 0, 1, s3
	v_mov_b32_e32 v16, 0
	ds_store_b32 v16, v6 offset:256
	s_waitcnt lgkmcnt(0)
	s_barrier
	buffer_gl0_inv
	ds_load_b32 v6, v16 offset:256
	s_waitcnt lgkmcnt(0)
	v_cmp_ne_u32_e32 vcc_lo, 0, v6
	s_cbranch_vccz .LBB5_20
.LBB5_19:
	s_endpgm
.LBB5_20:
	s_load_b128 s[12:15], s[0:1], 0x58
	v_dual_mov_b32 v18, 0x104 :: v_dual_and_b32 v7, 7, v0
	v_lshrrev_b32_e32 v8, 3, v0
	s_clause 0x1
	s_load_b64 s[22:23], s[0:1], 0x28
	s_load_b64 s[24:25], s[0:1], 0x48
	v_mov_b32_e32 v17, 0x100
	v_min_i32_e32 v2, v4, v2
	v_lshlrev_b32_e32 v4, 2, v7
	v_dual_mov_b32 v23, 1 :: v_dual_lshlrev_b32 v6, 2, v8
	v_max_i32_e32 v9, v8, v7
	s_cmp_eq_u32 s8, 0
	s_delay_alu instid0(VALU_DEP_3) | instskip(NEXT) | instid1(VALU_DEP_3)
	v_lshl_or_b32 v20, v8, 5, v4
	v_lshl_or_b32 v21, v7, 5, v6
	s_cselect_b32 vcc_lo, -1, 0
	v_lshlrev_b32_e32 v19, 2, v0
	v_cmp_gt_i32_e64 s0, s11, v9
	v_dual_cndmask_b32 v0, v8, v7 :: v_dual_cndmask_b32 v9, v7, v8
	v_cndmask_b32_e32 v22, v20, v21, vcc_lo
	s_cmp_lg_u32 s8, 0
	s_mul_i32 s7, s11, s11
	s_cselect_b32 s3, -1, 0
	s_branch .LBB5_22
.LBB5_21:                               ;   in Loop: Header=BB5_22 Depth=1
	s_or_b32 exec_lo, exec_lo, s1
	v_cmp_le_i32_e32 vcc_lo, s10, v2
	s_waitcnt_vscnt null, 0x0
	s_barrier
	buffer_gl0_inv
	v_cndmask_b32_e64 v4, 0, 1, vcc_lo
	s_barrier
	buffer_gl0_inv
	v_add_nc_u32_e32 v5, 1, v5
	ds_store_b32 v17, v4
	s_waitcnt lgkmcnt(0)
	s_barrier
	buffer_gl0_inv
	ds_load_b32 v4, v16 offset:256
	s_waitcnt lgkmcnt(0)
	v_cmp_eq_u32_e32 vcc_lo, 0, v4
	s_cbranch_vccz .LBB5_19
.LBB5_22:                               ; =>This Loop Header: Depth=1
                                        ;     Child Loop BB5_25 Depth 2
                                        ;     Child Loop BB5_40 Depth 2
	v_mov_b32_e32 v24, v2
	v_mov_b32_e32 v2, s10
	s_mov_b32 s8, exec_lo
	ds_store_b32 v18, v16
	ds_store_b32 v19, v16
	s_waitcnt lgkmcnt(0)
	s_barrier
	buffer_gl0_inv
	v_cmpx_lt_i32_e64 v1, v14
	s_cbranch_execz .LBB5_37
; %bb.23:                               ;   in Loop: Header=BB5_22 Depth=1
	v_mul_lo_u32 v4, s11, v1
	v_ashrrev_i32_e32 v2, 31, v1
	s_mov_b32 s9, 0
	s_mov_b32 s17, 0
	s_delay_alu instid0(VALU_DEP_1) | instskip(SKIP_1) | instid1(VALU_DEP_4)
	v_lshlrev_b64 v[25:26], 2, v[1:2]
	v_mov_b32_e32 v2, s10
	v_add_nc_u32_e32 v6, v7, v4
	v_add_nc_u32_e32 v4, v8, v4
	s_delay_alu instid0(VALU_DEP_2) | instskip(NEXT) | instid1(VALU_DEP_2)
	v_mad_u64_u32 v[10:11], null, s11, v6, v[8:9]
	v_mad_u64_u32 v[11:12], null, s11, v4, v[7:8]
	v_add_co_u32 v12, vcc_lo, s18, v25
	v_add_co_ci_u32_e32 v13, vcc_lo, s19, v26, vcc_lo
	s_branch .LBB5_25
.LBB5_24:                               ;   in Loop: Header=BB5_25 Depth=2
	s_or_b32 exec_lo, exec_lo, s26
	v_dual_mov_b32 v6, v1 :: v_dual_mov_b32 v1, v4
	s_and_b32 s1, exec_lo, s27
	s_delay_alu instid0(SALU_CYCLE_1) | instskip(NEXT) | instid1(SALU_CYCLE_1)
	s_or_b32 s9, s1, s9
	s_and_not1_b32 exec_lo, exec_lo, s9
	s_cbranch_execz .LBB5_36
.LBB5_25:                               ;   Parent Loop BB5_22 Depth=1
                                        ; =>  This Inner Loop Header: Depth=2
	global_load_b32 v4, v[12:13], off
	s_waitcnt vmcnt(0)
	v_subrev_nc_u32_e32 v4, s4, v4
	s_delay_alu instid0(VALU_DEP_1) | instskip(NEXT) | instid1(VALU_DEP_1)
	v_cmp_le_i32_e64 s1, v4, v24
	s_and_saveexec_b32 s26, s1
	s_delay_alu instid0(SALU_CYCLE_1)
	s_xor_b32 s26, exec_lo, s26
	s_cbranch_execz .LBB5_31
; %bb.26:                               ;   in Loop: Header=BB5_25 Depth=2
	ds_store_b32 v18, v23
	s_and_saveexec_b32 s27, s0
	s_cbranch_execz .LBB5_30
; %bb.27:                               ;   in Loop: Header=BB5_25 Depth=2
	s_and_b32 vcc_lo, exec_lo, s3
	s_cbranch_vccz .LBB5_35
; %bb.28:                               ;   in Loop: Header=BB5_25 Depth=2
	v_add_nc_u32_e32 v25, s17, v11
	s_delay_alu instid0(VALU_DEP_1) | instskip(NEXT) | instid1(VALU_DEP_1)
	v_ashrrev_i32_e32 v26, 31, v25
	v_lshlrev_b64 v[25:26], 2, v[25:26]
	s_delay_alu instid0(VALU_DEP_1) | instskip(NEXT) | instid1(VALU_DEP_2)
	v_add_co_u32 v25, vcc_lo, s22, v25
	v_add_co_ci_u32_e32 v26, vcc_lo, s23, v26, vcc_lo
	global_load_b32 v4, v[25:26], off
	s_waitcnt vmcnt(0)
	v_mul_f32_e32 v4, s2, v4
	ds_store_b32 v20, v4
	s_cbranch_execnz .LBB5_30
.LBB5_29:                               ;   in Loop: Header=BB5_25 Depth=2
	v_add_nc_u32_e32 v25, s17, v10
	s_delay_alu instid0(VALU_DEP_1) | instskip(NEXT) | instid1(VALU_DEP_1)
	v_ashrrev_i32_e32 v26, 31, v25
	v_lshlrev_b64 v[25:26], 2, v[25:26]
	s_delay_alu instid0(VALU_DEP_1) | instskip(NEXT) | instid1(VALU_DEP_2)
	v_add_co_u32 v25, vcc_lo, s22, v25
	v_add_co_ci_u32_e32 v26, vcc_lo, s23, v26, vcc_lo
	global_load_b32 v4, v[25:26], off
	s_waitcnt vmcnt(0)
	v_mul_f32_e32 v4, s2, v4
	ds_store_b32 v21, v4
.LBB5_30:                               ;   in Loop: Header=BB5_25 Depth=2
	s_or_b32 exec_lo, exec_lo, s27
                                        ; implicit-def: $vgpr4
	s_and_not1_saveexec_b32 s26, s26
	s_branch .LBB5_32
.LBB5_31:                               ;   in Loop: Header=BB5_25 Depth=2
	s_and_not1_saveexec_b32 s26, s26
.LBB5_32:                               ;   in Loop: Header=BB5_25 Depth=2
	v_min_i32_e32 v2, v4, v2
; %bb.33:                               ;   in Loop: Header=BB5_25 Depth=2
	s_or_b32 exec_lo, exec_lo, s26
	s_mov_b32 s27, -1
                                        ; implicit-def: $vgpr4
	s_and_saveexec_b32 s26, s1
	s_cbranch_execz .LBB5_24
; %bb.34:                               ;   in Loop: Header=BB5_25 Depth=2
	v_dual_mov_b32 v1, v14 :: v_dual_add_nc_u32 v4, 1, v1
	v_add_co_u32 v12, s1, v12, 4
	s_delay_alu instid0(VALU_DEP_1) | instskip(NEXT) | instid1(VALU_DEP_3)
	v_add_co_ci_u32_e64 v13, s1, 0, v13, s1
	v_cmp_ge_i32_e32 vcc_lo, v4, v14
	s_add_i32 s17, s17, s7
	s_or_not1_b32 s27, vcc_lo, exec_lo
	s_branch .LBB5_24
.LBB5_35:                               ;   in Loop: Header=BB5_25 Depth=2
	s_branch .LBB5_29
.LBB5_36:                               ;   in Loop: Header=BB5_22 Depth=1
	s_or_b32 exec_lo, exec_lo, s9
	v_mov_b32_e32 v1, v6
.LBB5_37:                               ;   in Loop: Header=BB5_22 Depth=1
	s_or_b32 exec_lo, exec_lo, s8
	s_delay_alu instid0(SALU_CYCLE_1)
	s_mov_b32 s8, exec_lo
	s_waitcnt lgkmcnt(0)
	s_barrier
	buffer_gl0_inv
	v_cmpx_lt_i32_e64 v3, v15
	s_cbranch_execz .LBB5_52
; %bb.38:                               ;   in Loop: Header=BB5_22 Depth=1
	v_mul_lo_u32 v6, s11, v3
	v_ashrrev_i32_e32 v4, 31, v3
	s_mov_b32 s9, 0
	s_mov_b32 s17, 0
	s_delay_alu instid0(VALU_DEP_1) | instskip(NEXT) | instid1(VALU_DEP_3)
	v_lshlrev_b64 v[25:26], 2, v[3:4]
	v_add_nc_u32_e32 v12, v7, v6
	v_add_nc_u32_e32 v6, v8, v6
	s_delay_alu instid0(VALU_DEP_2) | instskip(NEXT) | instid1(VALU_DEP_2)
	v_mad_u64_u32 v[10:11], null, s11, v12, v[8:9]
	v_mad_u64_u32 v[11:12], null, s11, v6, v[7:8]
	v_add_co_u32 v12, vcc_lo, s20, v25
	v_add_co_ci_u32_e32 v13, vcc_lo, s21, v26, vcc_lo
	s_branch .LBB5_40
.LBB5_39:                               ;   in Loop: Header=BB5_40 Depth=2
	s_or_b32 exec_lo, exec_lo, s26
	v_dual_mov_b32 v6, v3 :: v_dual_mov_b32 v3, v4
	s_and_b32 s1, exec_lo, s27
	s_delay_alu instid0(SALU_CYCLE_1) | instskip(NEXT) | instid1(SALU_CYCLE_1)
	s_or_b32 s9, s1, s9
	s_and_not1_b32 exec_lo, exec_lo, s9
	s_cbranch_execz .LBB5_51
.LBB5_40:                               ;   Parent Loop BB5_22 Depth=1
                                        ; =>  This Inner Loop Header: Depth=2
	global_load_b32 v4, v[12:13], off
	s_waitcnt vmcnt(0)
	v_subrev_nc_u32_e32 v4, s5, v4
	s_delay_alu instid0(VALU_DEP_1) | instskip(NEXT) | instid1(VALU_DEP_1)
	v_cmp_le_i32_e64 s1, v4, v24
	s_and_saveexec_b32 s26, s1
	s_delay_alu instid0(SALU_CYCLE_1)
	s_xor_b32 s26, exec_lo, s26
	s_cbranch_execz .LBB5_46
; %bb.41:                               ;   in Loop: Header=BB5_40 Depth=2
	ds_store_b32 v18, v23
	s_and_saveexec_b32 s27, s0
	s_cbranch_execz .LBB5_45
; %bb.42:                               ;   in Loop: Header=BB5_40 Depth=2
	s_and_b32 vcc_lo, exec_lo, s3
	s_cbranch_vccz .LBB5_50
; %bb.43:                               ;   in Loop: Header=BB5_40 Depth=2
	ds_load_b32 v6, v20
	v_add_nc_u32_e32 v25, s17, v11
	s_delay_alu instid0(VALU_DEP_1) | instskip(NEXT) | instid1(VALU_DEP_1)
	v_ashrrev_i32_e32 v26, 31, v25
	v_lshlrev_b64 v[25:26], 2, v[25:26]
	s_delay_alu instid0(VALU_DEP_1) | instskip(NEXT) | instid1(VALU_DEP_2)
	v_add_co_u32 v25, vcc_lo, s24, v25
	v_add_co_ci_u32_e32 v26, vcc_lo, s25, v26, vcc_lo
	global_load_b32 v4, v[25:26], off
	s_waitcnt vmcnt(0) lgkmcnt(0)
	v_fmac_f32_e32 v6, s16, v4
	ds_store_b32 v20, v6
	s_cbranch_execnz .LBB5_45
.LBB5_44:                               ;   in Loop: Header=BB5_40 Depth=2
	ds_load_b32 v6, v21
	v_add_nc_u32_e32 v25, s17, v10
	s_delay_alu instid0(VALU_DEP_1) | instskip(NEXT) | instid1(VALU_DEP_1)
	v_ashrrev_i32_e32 v26, 31, v25
	v_lshlrev_b64 v[25:26], 2, v[25:26]
	s_delay_alu instid0(VALU_DEP_1) | instskip(NEXT) | instid1(VALU_DEP_2)
	v_add_co_u32 v25, vcc_lo, s24, v25
	v_add_co_ci_u32_e32 v26, vcc_lo, s25, v26, vcc_lo
	global_load_b32 v4, v[25:26], off
	s_waitcnt vmcnt(0) lgkmcnt(0)
	v_fmac_f32_e32 v6, s16, v4
	ds_store_b32 v21, v6
.LBB5_45:                               ;   in Loop: Header=BB5_40 Depth=2
	s_or_b32 exec_lo, exec_lo, s27
                                        ; implicit-def: $vgpr4
	s_and_not1_saveexec_b32 s26, s26
	s_branch .LBB5_47
.LBB5_46:                               ;   in Loop: Header=BB5_40 Depth=2
	s_and_not1_saveexec_b32 s26, s26
.LBB5_47:                               ;   in Loop: Header=BB5_40 Depth=2
	v_min_i32_e32 v2, v4, v2
; %bb.48:                               ;   in Loop: Header=BB5_40 Depth=2
	s_or_b32 exec_lo, exec_lo, s26
	s_mov_b32 s27, -1
                                        ; implicit-def: $vgpr4
	s_and_saveexec_b32 s26, s1
	s_cbranch_execz .LBB5_39
; %bb.49:                               ;   in Loop: Header=BB5_40 Depth=2
	v_dual_mov_b32 v3, v15 :: v_dual_add_nc_u32 v4, 1, v3
	v_add_co_u32 v12, s1, v12, 4
	s_delay_alu instid0(VALU_DEP_1) | instskip(NEXT) | instid1(VALU_DEP_3)
	v_add_co_ci_u32_e64 v13, s1, 0, v13, s1
	v_cmp_ge_i32_e32 vcc_lo, v4, v15
	s_add_i32 s17, s17, s7
	s_or_not1_b32 s27, vcc_lo, exec_lo
	s_branch .LBB5_39
.LBB5_50:                               ;   in Loop: Header=BB5_40 Depth=2
	s_branch .LBB5_44
.LBB5_51:                               ;   in Loop: Header=BB5_22 Depth=1
	s_or_b32 exec_lo, exec_lo, s9
	v_mov_b32_e32 v3, v6
.LBB5_52:                               ;   in Loop: Header=BB5_22 Depth=1
	s_or_b32 exec_lo, exec_lo, s8
	s_waitcnt lgkmcnt(0)
	s_barrier
	buffer_gl0_inv
	ds_load_b32 v4, v18
	s_mov_b32 s1, exec_lo
	s_waitcnt lgkmcnt(0)
	v_cmpx_ne_u32_e32 0, v4
	s_cbranch_execz .LBB5_21
; %bb.53:                               ;   in Loop: Header=BB5_22 Depth=1
	v_ashrrev_i32_e32 v6, 31, v5
	v_add_nc_u32_e32 v4, s6, v24
	s_delay_alu instid0(VALU_DEP_2) | instskip(NEXT) | instid1(VALU_DEP_1)
	v_lshlrev_b64 v[10:11], 2, v[5:6]
	v_add_co_u32 v10, vcc_lo, s12, v10
	s_delay_alu instid0(VALU_DEP_2)
	v_add_co_ci_u32_e32 v11, vcc_lo, s13, v11, vcc_lo
	global_store_b32 v[10:11], v4, off
	s_and_b32 exec_lo, exec_lo, s0
	s_cbranch_execz .LBB5_21
; %bb.54:                               ;   in Loop: Header=BB5_22 Depth=1
	v_mad_u64_u32 v[10:11], null, v5, s11, v[0:1]
	ds_load_b32 v4, v22
	v_mad_u64_u32 v[11:12], null, v10, s11, v[9:10]
	s_delay_alu instid0(VALU_DEP_1) | instskip(NEXT) | instid1(VALU_DEP_1)
	v_ashrrev_i32_e32 v12, 31, v11
	v_lshlrev_b64 v[10:11], 2, v[11:12]
	s_delay_alu instid0(VALU_DEP_1) | instskip(NEXT) | instid1(VALU_DEP_2)
	v_add_co_u32 v10, vcc_lo, s14, v10
	v_add_co_ci_u32_e32 v11, vcc_lo, s15, v11, vcc_lo
	s_waitcnt lgkmcnt(0)
	global_store_b32 v[10:11], v4, off
	s_branch .LBB5_21
	.section	.rodata,"a",@progbits
	.p2align	6, 0x0
	.amdhsa_kernel _ZN9rocsparseL35bsrgeam_wf_per_row_multipass_kernelILj64ELj8EfEEv20rocsparse_direction_iiiNS_24const_host_device_scalarIT1_EEPKiS6_PKS3_S4_S6_S6_S8_S6_PiPS3_21rocsparse_index_base_SB_SB_b
		.amdhsa_group_segment_fixed_size 264
		.amdhsa_private_segment_fixed_size 0
		.amdhsa_kernarg_size 120
		.amdhsa_user_sgpr_count 15
		.amdhsa_user_sgpr_dispatch_ptr 0
		.amdhsa_user_sgpr_queue_ptr 0
		.amdhsa_user_sgpr_kernarg_segment_ptr 1
		.amdhsa_user_sgpr_dispatch_id 0
		.amdhsa_user_sgpr_private_segment_size 0
		.amdhsa_wavefront_size32 1
		.amdhsa_uses_dynamic_stack 0
		.amdhsa_enable_private_segment 0
		.amdhsa_system_sgpr_workgroup_id_x 1
		.amdhsa_system_sgpr_workgroup_id_y 0
		.amdhsa_system_sgpr_workgroup_id_z 0
		.amdhsa_system_sgpr_workgroup_info 0
		.amdhsa_system_vgpr_workitem_id 0
		.amdhsa_next_free_vgpr 27
		.amdhsa_next_free_sgpr 28
		.amdhsa_reserve_vcc 1
		.amdhsa_float_round_mode_32 0
		.amdhsa_float_round_mode_16_64 0
		.amdhsa_float_denorm_mode_32 3
		.amdhsa_float_denorm_mode_16_64 3
		.amdhsa_dx10_clamp 1
		.amdhsa_ieee_mode 1
		.amdhsa_fp16_overflow 0
		.amdhsa_workgroup_processor_mode 1
		.amdhsa_memory_ordered 1
		.amdhsa_forward_progress 0
		.amdhsa_shared_vgpr_count 0
		.amdhsa_exception_fp_ieee_invalid_op 0
		.amdhsa_exception_fp_denorm_src 0
		.amdhsa_exception_fp_ieee_div_zero 0
		.amdhsa_exception_fp_ieee_overflow 0
		.amdhsa_exception_fp_ieee_underflow 0
		.amdhsa_exception_fp_ieee_inexact 0
		.amdhsa_exception_int_div_zero 0
	.end_amdhsa_kernel
	.section	.text._ZN9rocsparseL35bsrgeam_wf_per_row_multipass_kernelILj64ELj8EfEEv20rocsparse_direction_iiiNS_24const_host_device_scalarIT1_EEPKiS6_PKS3_S4_S6_S6_S8_S6_PiPS3_21rocsparse_index_base_SB_SB_b,"axG",@progbits,_ZN9rocsparseL35bsrgeam_wf_per_row_multipass_kernelILj64ELj8EfEEv20rocsparse_direction_iiiNS_24const_host_device_scalarIT1_EEPKiS6_PKS3_S4_S6_S6_S8_S6_PiPS3_21rocsparse_index_base_SB_SB_b,comdat
.Lfunc_end5:
	.size	_ZN9rocsparseL35bsrgeam_wf_per_row_multipass_kernelILj64ELj8EfEEv20rocsparse_direction_iiiNS_24const_host_device_scalarIT1_EEPKiS6_PKS3_S4_S6_S6_S8_S6_PiPS3_21rocsparse_index_base_SB_SB_b, .Lfunc_end5-_ZN9rocsparseL35bsrgeam_wf_per_row_multipass_kernelILj64ELj8EfEEv20rocsparse_direction_iiiNS_24const_host_device_scalarIT1_EEPKiS6_PKS3_S4_S6_S6_S8_S6_PiPS3_21rocsparse_index_base_SB_SB_b
                                        ; -- End function
	.section	.AMDGPU.csdata,"",@progbits
; Kernel info:
; codeLenInByte = 2024
; NumSgprs: 30
; NumVgprs: 27
; ScratchSize: 0
; MemoryBound: 0
; FloatMode: 240
; IeeeMode: 1
; LDSByteSize: 264 bytes/workgroup (compile time only)
; SGPRBlocks: 3
; VGPRBlocks: 3
; NumSGPRsForWavesPerEU: 30
; NumVGPRsForWavesPerEU: 27
; Occupancy: 16
; WaveLimiterHint : 0
; COMPUTE_PGM_RSRC2:SCRATCH_EN: 0
; COMPUTE_PGM_RSRC2:USER_SGPR: 15
; COMPUTE_PGM_RSRC2:TRAP_HANDLER: 0
; COMPUTE_PGM_RSRC2:TGID_X_EN: 1
; COMPUTE_PGM_RSRC2:TGID_Y_EN: 0
; COMPUTE_PGM_RSRC2:TGID_Z_EN: 0
; COMPUTE_PGM_RSRC2:TIDIG_COMP_CNT: 0
	.section	.text._ZN9rocsparseL39bsrgeam_block_per_row_multipass_kernel2ILj256ELj16EfEEv20rocsparse_direction_iiiNS_24const_host_device_scalarIT1_EEPKiS6_PKS3_S4_S6_S6_S8_S6_PiPS3_21rocsparse_index_base_SB_SB_b,"axG",@progbits,_ZN9rocsparseL39bsrgeam_block_per_row_multipass_kernel2ILj256ELj16EfEEv20rocsparse_direction_iiiNS_24const_host_device_scalarIT1_EEPKiS6_PKS3_S4_S6_S6_S8_S6_PiPS3_21rocsparse_index_base_SB_SB_b,comdat
	.globl	_ZN9rocsparseL39bsrgeam_block_per_row_multipass_kernel2ILj256ELj16EfEEv20rocsparse_direction_iiiNS_24const_host_device_scalarIT1_EEPKiS6_PKS3_S4_S6_S6_S8_S6_PiPS3_21rocsparse_index_base_SB_SB_b ; -- Begin function _ZN9rocsparseL39bsrgeam_block_per_row_multipass_kernel2ILj256ELj16EfEEv20rocsparse_direction_iiiNS_24const_host_device_scalarIT1_EEPKiS6_PKS3_S4_S6_S6_S8_S6_PiPS3_21rocsparse_index_base_SB_SB_b
	.p2align	8
	.type	_ZN9rocsparseL39bsrgeam_block_per_row_multipass_kernel2ILj256ELj16EfEEv20rocsparse_direction_iiiNS_24const_host_device_scalarIT1_EEPKiS6_PKS3_S4_S6_S6_S8_S6_PiPS3_21rocsparse_index_base_SB_SB_b,@function
_ZN9rocsparseL39bsrgeam_block_per_row_multipass_kernel2ILj256ELj16EfEEv20rocsparse_direction_iiiNS_24const_host_device_scalarIT1_EEPKiS6_PKS3_S4_S6_S6_S8_S6_PiPS3_21rocsparse_index_base_SB_SB_b: ; @_ZN9rocsparseL39bsrgeam_block_per_row_multipass_kernel2ILj256ELj16EfEEv20rocsparse_direction_iiiNS_24const_host_device_scalarIT1_EEPKiS6_PKS3_S4_S6_S6_S8_S6_PiPS3_21rocsparse_index_base_SB_SB_b
; %bb.0:
	s_mov_b32 s18, s15
	s_clause 0x3
	s_load_b128 s[4:7], s[0:1], 0x68
	s_load_b64 s[16:17], s[0:1], 0x50
	s_load_b128 s[8:11], s[0:1], 0x10
	s_load_b128 s[12:15], s[0:1], 0x30
	s_waitcnt lgkmcnt(0)
	s_bitcmp1_b32 s7, 0
	s_cselect_b32 s2, -1, 0
	s_delay_alu instid0(SALU_CYCLE_1)
	s_and_b32 vcc_lo, exec_lo, s2
	s_xor_b32 s7, s2, -1
	s_cbranch_vccnz .LBB6_2
; %bb.1:
	s_load_b32 s8, s[8:9], 0x0
.LBB6_2:
	s_load_b64 s[2:3], s[0:1], 0x20
	s_and_not1_b32 vcc_lo, exec_lo, s7
	s_cbranch_vccnz .LBB6_4
; %bb.3:
	s_load_b32 s12, s[12:13], 0x0
.LBB6_4:
	s_ashr_i32 s19, s18, 31
	s_delay_alu instid0(SALU_CYCLE_1) | instskip(NEXT) | instid1(SALU_CYCLE_1)
	s_lshl_b64 s[18:19], s[18:19], 2
	s_add_u32 s10, s10, s18
	s_addc_u32 s11, s11, s19
	s_load_b64 s[24:25], s[10:11], 0x0
	s_load_b64 s[10:11], s[0:1], 0x8
	s_waitcnt lgkmcnt(0)
	s_sub_i32 s26, s24, s4
	s_add_u32 s20, s14, s18
	s_addc_u32 s21, s15, s19
	s_load_b64 s[14:15], s[0:1], 0x40
	s_load_b64 s[28:29], s[20:21], 0x0
	s_add_u32 s30, s16, s18
	s_addc_u32 s31, s17, s19
	s_cmp_ge_i32 s24, s25
	s_mov_b32 s9, s10
	s_cbranch_scc1 .LBB6_6
; %bb.5:
	s_ashr_i32 s27, s26, 31
	s_delay_alu instid0(SALU_CYCLE_1) | instskip(NEXT) | instid1(SALU_CYCLE_1)
	s_lshl_b64 s[16:17], s[26:27], 2
	s_add_u32 s16, s2, s16
	s_addc_u32 s17, s3, s17
	s_load_b32 s7, s[16:17], 0x0
	s_waitcnt lgkmcnt(0)
	s_sub_i32 s9, s7, s4
.LBB6_6:
	s_clause 0x2
	s_load_b128 s[16:19], s[0:1], 0x58
	s_load_b64 s[20:21], s[0:1], 0x28
	s_load_b64 s[22:23], s[0:1], 0x48
	s_load_b32 s13, s[30:31], 0x0
	s_waitcnt lgkmcnt(0)
	s_sub_i32 s30, s28, s5
	s_cmp_ge_i32 s28, s29
	s_mov_b32 s27, s10
	s_cbranch_scc1 .LBB6_8
; %bb.7:
	s_ashr_i32 s31, s30, 31
	s_delay_alu instid0(SALU_CYCLE_1) | instskip(NEXT) | instid1(SALU_CYCLE_1)
	s_lshl_b64 s[34:35], s[30:31], 2
	s_add_u32 s34, s14, s34
	s_addc_u32 s35, s15, s35
	s_load_b32 s7, s[34:35], 0x0
	s_waitcnt lgkmcnt(0)
	s_sub_i32 s27, s7, s5
.LBB6_8:
	s_load_b32 s28, s[0:1], 0x0
	v_dual_mov_b32 v16, 1 :: v_dual_and_b32 v1, 15, v0
	v_lshrrev_b32_e32 v2, 4, v0
	s_sub_i32 s1, s25, s4
	s_sub_i32 s7, s29, s5
	s_delay_alu instid0(VALU_DEP_2)
	v_cmp_gt_u32_e32 vcc_lo, s11, v1
	s_sub_i32 s24, s13, s6
	v_cmp_gt_i32_e64 s0, s11, v2
	s_min_i32 s13, s27, s9
	v_mov_b32_e32 v7, 0
	v_mov_b32_e32 v17, s13
	s_mov_b32 s13, 0
	s_and_b32 s9, vcc_lo, s0
	s_mul_i32 s27, s11, s11
	v_mov_b32_e32 v3, s30
	s_waitcnt lgkmcnt(0)
	s_cmp_eq_u32 s28, 0
	s_cselect_b32 vcc_lo, -1, 0
	v_lshlrev_b32_e32 v13, 2, v0
	v_dual_mov_b32 v5, s26 :: v_dual_lshlrev_b32 v0, 2, v2
	v_cndmask_b32_e32 v8, v2, v1, vcc_lo
	s_cmp_lg_u32 s28, 0
	s_delay_alu instid0(VALU_DEP_2) | instskip(SKIP_2) | instid1(VALU_DEP_2)
	v_lshl_or_b32 v14, v1, 6, v0
	v_cndmask_b32_e32 v0, v1, v2, vcc_lo
	s_cselect_b32 s26, -1, 0
	v_cndmask_b32_e32 v15, v14, v13, vcc_lo
	s_branch .LBB6_11
.LBB6_9:                                ;   in Loop: Header=BB6_11 Depth=1
	s_or_b32 exec_lo, exec_lo, s0
.LBB6_10:                               ;   in Loop: Header=BB6_11 Depth=1
	s_waitcnt_vscnt null, 0x0
	s_barrier
	buffer_gl0_inv
	ds_load_b32 v4, v7 offset:1024
	v_cmp_le_i32_e32 vcc_lo, s10, v18
	v_mov_b32_e32 v17, v18
	s_waitcnt lgkmcnt(0)
	s_barrier
	buffer_gl0_inv
	v_readfirstlane_b32 s0, v4
	s_delay_alu instid0(VALU_DEP_1) | instskip(SKIP_1) | instid1(SALU_CYCLE_1)
	s_add_i32 s24, s0, s24
	s_or_b32 s13, vcc_lo, s13
	s_and_not1_b32 exec_lo, exec_lo, s13
	s_cbranch_execz .LBB6_44
.LBB6_11:                               ; =>This Loop Header: Depth=1
                                        ;     Child Loop BB6_14 Depth 2
                                        ;     Child Loop BB6_29 Depth 2
	v_mov_b32_e32 v18, s10
	s_mov_b32 s25, exec_lo
	ds_store_b32 v7, v7 offset:1024
	ds_store_b32 v13, v7
	s_waitcnt lgkmcnt(0)
	s_barrier
	buffer_gl0_inv
	v_cmpx_gt_i32_e64 s1, v5
	s_cbranch_execz .LBB6_26
; %bb.12:                               ;   in Loop: Header=BB6_11 Depth=1
	v_mul_lo_u32 v4, s11, v5
	v_ashrrev_i32_e32 v6, 31, v5
	s_mov_b32 s28, 0
	s_mov_b32 s29, 0
	s_delay_alu instid0(VALU_DEP_1) | instskip(NEXT) | instid1(VALU_DEP_3)
	v_lshlrev_b64 v[18:19], 2, v[5:6]
	v_add_nc_u32_e32 v11, v2, v4
	v_add_nc_u32_e32 v4, v1, v4
	s_delay_alu instid0(VALU_DEP_2) | instskip(NEXT) | instid1(VALU_DEP_2)
	v_mad_u64_u32 v[9:10], null, s11, v11, v[1:2]
	v_mad_u64_u32 v[10:11], null, s11, v4, v[2:3]
	v_add_co_u32 v11, vcc_lo, s2, v18
	v_mov_b32_e32 v18, s10
	v_add_co_ci_u32_e32 v12, vcc_lo, s3, v19, vcc_lo
	s_branch .LBB6_14
.LBB6_13:                               ;   in Loop: Header=BB6_14 Depth=2
	s_or_b32 exec_lo, exec_lo, s31
	s_delay_alu instid0(SALU_CYCLE_1) | instskip(NEXT) | instid1(SALU_CYCLE_1)
	s_and_b32 s0, exec_lo, s30
	s_or_b32 s28, s0, s28
	s_delay_alu instid0(SALU_CYCLE_1)
	s_and_not1_b32 exec_lo, exec_lo, s28
	s_cbranch_execz .LBB6_25
.LBB6_14:                               ;   Parent Loop BB6_11 Depth=1
                                        ; =>  This Inner Loop Header: Depth=2
	global_load_b32 v4, v[11:12], off
	s_mov_b32 s30, exec_lo
	s_waitcnt vmcnt(0)
	v_subrev_nc_u32_e32 v4, s4, v4
	s_delay_alu instid0(VALU_DEP_1)
	v_cmp_eq_u32_e64 s0, v4, v17
	v_cmpx_ne_u32_e64 v4, v17
	s_xor_b32 s30, exec_lo, s30
	s_cbranch_execnz .LBB6_17
; %bb.15:                               ;   in Loop: Header=BB6_14 Depth=2
	s_and_not1_saveexec_b32 s30, s30
	s_cbranch_execnz .LBB6_18
.LBB6_16:                               ;   in Loop: Header=BB6_14 Depth=2
	s_or_b32 exec_lo, exec_lo, s30
	s_mov_b32 s30, -1
	s_and_saveexec_b32 s31, s0
	s_cbranch_execz .LBB6_13
	s_branch .LBB6_24
.LBB6_17:                               ;   in Loop: Header=BB6_14 Depth=2
	v_min_i32_e32 v18, v4, v18
	s_and_not1_saveexec_b32 s30, s30
	s_cbranch_execz .LBB6_16
.LBB6_18:                               ;   in Loop: Header=BB6_14 Depth=2
	ds_store_b32 v7, v16 offset:1024
	s_and_saveexec_b32 s31, s9
	s_cbranch_execz .LBB6_23
; %bb.19:                               ;   in Loop: Header=BB6_14 Depth=2
	s_and_b32 vcc_lo, exec_lo, s26
	s_cbranch_vccz .LBB6_21
; %bb.20:                               ;   in Loop: Header=BB6_14 Depth=2
	v_add_nc_u32_e32 v6, s29, v10
	s_delay_alu instid0(VALU_DEP_1) | instskip(NEXT) | instid1(VALU_DEP_1)
	v_lshlrev_b64 v[19:20], 2, v[6:7]
	v_add_co_u32 v19, vcc_lo, s20, v19
	s_delay_alu instid0(VALU_DEP_2)
	v_add_co_ci_u32_e32 v20, vcc_lo, s21, v20, vcc_lo
	global_load_b32 v4, v[19:20], off
	s_waitcnt vmcnt(0)
	v_mul_f32_e32 v4, s8, v4
	ds_store_b32 v14, v4
	s_cbranch_execz .LBB6_22
	s_branch .LBB6_23
.LBB6_21:                               ;   in Loop: Header=BB6_14 Depth=2
.LBB6_22:                               ;   in Loop: Header=BB6_14 Depth=2
	v_add_nc_u32_e32 v6, s29, v9
	s_delay_alu instid0(VALU_DEP_1) | instskip(NEXT) | instid1(VALU_DEP_1)
	v_lshlrev_b64 v[19:20], 2, v[6:7]
	v_add_co_u32 v19, vcc_lo, s20, v19
	s_delay_alu instid0(VALU_DEP_2)
	v_add_co_ci_u32_e32 v20, vcc_lo, s21, v20, vcc_lo
	global_load_b32 v4, v[19:20], off
	s_waitcnt vmcnt(0)
	v_mul_f32_e32 v4, s8, v4
	ds_store_b32 v13, v4
.LBB6_23:                               ;   in Loop: Header=BB6_14 Depth=2
	s_or_b32 exec_lo, exec_lo, s31
	s_delay_alu instid0(SALU_CYCLE_1)
	s_or_b32 exec_lo, exec_lo, s30
	s_mov_b32 s30, -1
	s_and_saveexec_b32 s31, s0
	s_cbranch_execz .LBB6_13
.LBB6_24:                               ;   in Loop: Header=BB6_14 Depth=2
	v_add_nc_u32_e32 v5, 1, v5
	v_add_co_u32 v11, s0, v11, 4
	s_delay_alu instid0(VALU_DEP_1) | instskip(NEXT) | instid1(VALU_DEP_3)
	v_add_co_ci_u32_e64 v12, s0, 0, v12, s0
	v_cmp_le_i32_e32 vcc_lo, s1, v5
	s_add_i32 s29, s29, s27
	s_or_not1_b32 s30, vcc_lo, exec_lo
	s_branch .LBB6_13
.LBB6_25:                               ;   in Loop: Header=BB6_11 Depth=1
	s_or_b32 exec_lo, exec_lo, s28
.LBB6_26:                               ;   in Loop: Header=BB6_11 Depth=1
	s_delay_alu instid0(SALU_CYCLE_1) | instskip(NEXT) | instid1(SALU_CYCLE_1)
	s_or_b32 exec_lo, exec_lo, s25
	s_mov_b32 s25, exec_lo
	s_waitcnt lgkmcnt(0)
	s_barrier
	buffer_gl0_inv
	v_cmpx_gt_i32_e64 s7, v3
	s_cbranch_execz .LBB6_41
; %bb.27:                               ;   in Loop: Header=BB6_11 Depth=1
	v_mul_lo_u32 v6, s11, v3
	v_ashrrev_i32_e32 v4, 31, v3
	s_mov_b32 s28, 0
	s_mov_b32 s29, 0
	s_delay_alu instid0(VALU_DEP_1) | instskip(NEXT) | instid1(VALU_DEP_3)
	v_lshlrev_b64 v[19:20], 2, v[3:4]
	v_add_nc_u32_e32 v11, v2, v6
	v_add_nc_u32_e32 v6, v1, v6
	s_delay_alu instid0(VALU_DEP_2) | instskip(NEXT) | instid1(VALU_DEP_2)
	v_mad_u64_u32 v[9:10], null, s11, v11, v[1:2]
	v_mad_u64_u32 v[10:11], null, s11, v6, v[2:3]
	v_add_co_u32 v11, vcc_lo, s14, v19
	v_add_co_ci_u32_e32 v12, vcc_lo, s15, v20, vcc_lo
	s_branch .LBB6_29
.LBB6_28:                               ;   in Loop: Header=BB6_29 Depth=2
	s_or_b32 exec_lo, exec_lo, s31
	s_delay_alu instid0(SALU_CYCLE_1) | instskip(NEXT) | instid1(SALU_CYCLE_1)
	s_and_b32 s0, exec_lo, s30
	s_or_b32 s28, s0, s28
	s_delay_alu instid0(SALU_CYCLE_1)
	s_and_not1_b32 exec_lo, exec_lo, s28
	s_cbranch_execz .LBB6_40
.LBB6_29:                               ;   Parent Loop BB6_11 Depth=1
                                        ; =>  This Inner Loop Header: Depth=2
	global_load_b32 v4, v[11:12], off
	s_mov_b32 s30, exec_lo
	s_waitcnt vmcnt(0)
	v_subrev_nc_u32_e32 v4, s5, v4
	s_delay_alu instid0(VALU_DEP_1)
	v_cmp_eq_u32_e64 s0, v4, v17
	v_cmpx_ne_u32_e64 v4, v17
	s_xor_b32 s30, exec_lo, s30
	s_cbranch_execnz .LBB6_32
; %bb.30:                               ;   in Loop: Header=BB6_29 Depth=2
	s_and_not1_saveexec_b32 s30, s30
	s_cbranch_execnz .LBB6_33
.LBB6_31:                               ;   in Loop: Header=BB6_29 Depth=2
	s_or_b32 exec_lo, exec_lo, s30
	s_mov_b32 s30, -1
	s_and_saveexec_b32 s31, s0
	s_cbranch_execz .LBB6_28
	s_branch .LBB6_39
.LBB6_32:                               ;   in Loop: Header=BB6_29 Depth=2
	v_min_i32_e32 v18, v4, v18
	s_and_not1_saveexec_b32 s30, s30
	s_cbranch_execz .LBB6_31
.LBB6_33:                               ;   in Loop: Header=BB6_29 Depth=2
	ds_store_b32 v7, v16 offset:1024
	s_and_saveexec_b32 s31, s9
	s_cbranch_execz .LBB6_38
; %bb.34:                               ;   in Loop: Header=BB6_29 Depth=2
	s_and_b32 vcc_lo, exec_lo, s26
	s_cbranch_vccz .LBB6_36
; %bb.35:                               ;   in Loop: Header=BB6_29 Depth=2
	v_add_nc_u32_e32 v6, s29, v10
	s_delay_alu instid0(VALU_DEP_1)
	v_lshlrev_b64 v[19:20], 2, v[6:7]
	ds_load_b32 v6, v14
	v_add_co_u32 v19, vcc_lo, s22, v19
	v_add_co_ci_u32_e32 v20, vcc_lo, s23, v20, vcc_lo
	global_load_b32 v4, v[19:20], off
	s_waitcnt vmcnt(0) lgkmcnt(0)
	v_fmac_f32_e32 v6, s12, v4
	ds_store_b32 v14, v6
	s_cbranch_execz .LBB6_37
	s_branch .LBB6_38
.LBB6_36:                               ;   in Loop: Header=BB6_29 Depth=2
.LBB6_37:                               ;   in Loop: Header=BB6_29 Depth=2
	v_add_nc_u32_e32 v6, s29, v9
	s_delay_alu instid0(VALU_DEP_1)
	v_lshlrev_b64 v[19:20], 2, v[6:7]
	ds_load_b32 v6, v13
	v_add_co_u32 v19, vcc_lo, s22, v19
	v_add_co_ci_u32_e32 v20, vcc_lo, s23, v20, vcc_lo
	global_load_b32 v4, v[19:20], off
	s_waitcnt vmcnt(0) lgkmcnt(0)
	v_fmac_f32_e32 v6, s12, v4
	ds_store_b32 v13, v6
.LBB6_38:                               ;   in Loop: Header=BB6_29 Depth=2
	s_or_b32 exec_lo, exec_lo, s31
	s_delay_alu instid0(SALU_CYCLE_1)
	s_or_b32 exec_lo, exec_lo, s30
	s_mov_b32 s30, -1
	s_and_saveexec_b32 s31, s0
	s_cbranch_execz .LBB6_28
.LBB6_39:                               ;   in Loop: Header=BB6_29 Depth=2
	v_add_nc_u32_e32 v3, 1, v3
	v_add_co_u32 v11, s0, v11, 4
	s_delay_alu instid0(VALU_DEP_1) | instskip(NEXT) | instid1(VALU_DEP_3)
	v_add_co_ci_u32_e64 v12, s0, 0, v12, s0
	v_cmp_le_i32_e32 vcc_lo, s7, v3
	s_add_i32 s29, s29, s27
	s_or_not1_b32 s30, vcc_lo, exec_lo
	s_branch .LBB6_28
.LBB6_40:                               ;   in Loop: Header=BB6_11 Depth=1
	s_or_b32 exec_lo, exec_lo, s28
.LBB6_41:                               ;   in Loop: Header=BB6_11 Depth=1
	s_delay_alu instid0(SALU_CYCLE_1)
	s_or_b32 exec_lo, exec_lo, s25
	s_waitcnt lgkmcnt(0)
	s_barrier
	buffer_gl0_inv
	ds_load_b32 v4, v7 offset:1024
	s_waitcnt lgkmcnt(0)
	v_cmp_eq_u32_e32 vcc_lo, 0, v4
	s_cbranch_vccnz .LBB6_10
; %bb.42:                               ;   in Loop: Header=BB6_11 Depth=1
	s_ashr_i32 s25, s24, 31
	v_add_nc_u32_e32 v4, s6, v17
	s_lshl_b64 s[28:29], s[24:25], 2
	s_delay_alu instid0(SALU_CYCLE_1)
	s_add_u32 s28, s16, s28
	s_addc_u32 s29, s17, s29
	global_store_b32 v7, v4, s[28:29]
	s_and_saveexec_b32 s0, s9
	s_cbranch_execz .LBB6_9
; %bb.43:                               ;   in Loop: Header=BB6_11 Depth=1
	v_mad_u64_u32 v[9:10], null, s24, s11, v[0:1]
	ds_load_b32 v4, v15
	v_mad_u64_u32 v[10:11], null, v9, s11, v[8:9]
	v_mov_b32_e32 v11, v7
	s_delay_alu instid0(VALU_DEP_1) | instskip(NEXT) | instid1(VALU_DEP_1)
	v_lshlrev_b64 v[9:10], 2, v[10:11]
	v_add_co_u32 v9, vcc_lo, s18, v9
	s_delay_alu instid0(VALU_DEP_2)
	v_add_co_ci_u32_e32 v10, vcc_lo, s19, v10, vcc_lo
	s_waitcnt lgkmcnt(0)
	global_store_b32 v[9:10], v4, off
	s_branch .LBB6_9
.LBB6_44:
	s_endpgm
	.section	.rodata,"a",@progbits
	.p2align	6, 0x0
	.amdhsa_kernel _ZN9rocsparseL39bsrgeam_block_per_row_multipass_kernel2ILj256ELj16EfEEv20rocsparse_direction_iiiNS_24const_host_device_scalarIT1_EEPKiS6_PKS3_S4_S6_S6_S8_S6_PiPS3_21rocsparse_index_base_SB_SB_b
		.amdhsa_group_segment_fixed_size 1028
		.amdhsa_private_segment_fixed_size 0
		.amdhsa_kernarg_size 120
		.amdhsa_user_sgpr_count 15
		.amdhsa_user_sgpr_dispatch_ptr 0
		.amdhsa_user_sgpr_queue_ptr 0
		.amdhsa_user_sgpr_kernarg_segment_ptr 1
		.amdhsa_user_sgpr_dispatch_id 0
		.amdhsa_user_sgpr_private_segment_size 0
		.amdhsa_wavefront_size32 1
		.amdhsa_uses_dynamic_stack 0
		.amdhsa_enable_private_segment 0
		.amdhsa_system_sgpr_workgroup_id_x 1
		.amdhsa_system_sgpr_workgroup_id_y 0
		.amdhsa_system_sgpr_workgroup_id_z 0
		.amdhsa_system_sgpr_workgroup_info 0
		.amdhsa_system_vgpr_workitem_id 0
		.amdhsa_next_free_vgpr 21
		.amdhsa_next_free_sgpr 36
		.amdhsa_reserve_vcc 1
		.amdhsa_float_round_mode_32 0
		.amdhsa_float_round_mode_16_64 0
		.amdhsa_float_denorm_mode_32 3
		.amdhsa_float_denorm_mode_16_64 3
		.amdhsa_dx10_clamp 1
		.amdhsa_ieee_mode 1
		.amdhsa_fp16_overflow 0
		.amdhsa_workgroup_processor_mode 1
		.amdhsa_memory_ordered 1
		.amdhsa_forward_progress 0
		.amdhsa_shared_vgpr_count 0
		.amdhsa_exception_fp_ieee_invalid_op 0
		.amdhsa_exception_fp_denorm_src 0
		.amdhsa_exception_fp_ieee_div_zero 0
		.amdhsa_exception_fp_ieee_overflow 0
		.amdhsa_exception_fp_ieee_underflow 0
		.amdhsa_exception_fp_ieee_inexact 0
		.amdhsa_exception_int_div_zero 0
	.end_amdhsa_kernel
	.section	.text._ZN9rocsparseL39bsrgeam_block_per_row_multipass_kernel2ILj256ELj16EfEEv20rocsparse_direction_iiiNS_24const_host_device_scalarIT1_EEPKiS6_PKS3_S4_S6_S6_S8_S6_PiPS3_21rocsparse_index_base_SB_SB_b,"axG",@progbits,_ZN9rocsparseL39bsrgeam_block_per_row_multipass_kernel2ILj256ELj16EfEEv20rocsparse_direction_iiiNS_24const_host_device_scalarIT1_EEPKiS6_PKS3_S4_S6_S6_S8_S6_PiPS3_21rocsparse_index_base_SB_SB_b,comdat
.Lfunc_end6:
	.size	_ZN9rocsparseL39bsrgeam_block_per_row_multipass_kernel2ILj256ELj16EfEEv20rocsparse_direction_iiiNS_24const_host_device_scalarIT1_EEPKiS6_PKS3_S4_S6_S6_S8_S6_PiPS3_21rocsparse_index_base_SB_SB_b, .Lfunc_end6-_ZN9rocsparseL39bsrgeam_block_per_row_multipass_kernel2ILj256ELj16EfEEv20rocsparse_direction_iiiNS_24const_host_device_scalarIT1_EEPKiS6_PKS3_S4_S6_S6_S8_S6_PiPS3_21rocsparse_index_base_SB_SB_b
                                        ; -- End function
	.section	.AMDGPU.csdata,"",@progbits
; Kernel info:
; codeLenInByte = 1600
; NumSgprs: 38
; NumVgprs: 21
; ScratchSize: 0
; MemoryBound: 0
; FloatMode: 240
; IeeeMode: 1
; LDSByteSize: 1028 bytes/workgroup (compile time only)
; SGPRBlocks: 4
; VGPRBlocks: 2
; NumSGPRsForWavesPerEU: 38
; NumVGPRsForWavesPerEU: 21
; Occupancy: 16
; WaveLimiterHint : 1
; COMPUTE_PGM_RSRC2:SCRATCH_EN: 0
; COMPUTE_PGM_RSRC2:USER_SGPR: 15
; COMPUTE_PGM_RSRC2:TRAP_HANDLER: 0
; COMPUTE_PGM_RSRC2:TGID_X_EN: 1
; COMPUTE_PGM_RSRC2:TGID_Y_EN: 0
; COMPUTE_PGM_RSRC2:TGID_Z_EN: 0
; COMPUTE_PGM_RSRC2:TIDIG_COMP_CNT: 0
	.section	.text._ZN9rocsparseL39bsrgeam_block_per_row_multipass_kernel2ILj256ELj32EfEEv20rocsparse_direction_iiiNS_24const_host_device_scalarIT1_EEPKiS6_PKS3_S4_S6_S6_S8_S6_PiPS3_21rocsparse_index_base_SB_SB_b,"axG",@progbits,_ZN9rocsparseL39bsrgeam_block_per_row_multipass_kernel2ILj256ELj32EfEEv20rocsparse_direction_iiiNS_24const_host_device_scalarIT1_EEPKiS6_PKS3_S4_S6_S6_S8_S6_PiPS3_21rocsparse_index_base_SB_SB_b,comdat
	.globl	_ZN9rocsparseL39bsrgeam_block_per_row_multipass_kernel2ILj256ELj32EfEEv20rocsparse_direction_iiiNS_24const_host_device_scalarIT1_EEPKiS6_PKS3_S4_S6_S6_S8_S6_PiPS3_21rocsparse_index_base_SB_SB_b ; -- Begin function _ZN9rocsparseL39bsrgeam_block_per_row_multipass_kernel2ILj256ELj32EfEEv20rocsparse_direction_iiiNS_24const_host_device_scalarIT1_EEPKiS6_PKS3_S4_S6_S6_S8_S6_PiPS3_21rocsparse_index_base_SB_SB_b
	.p2align	8
	.type	_ZN9rocsparseL39bsrgeam_block_per_row_multipass_kernel2ILj256ELj32EfEEv20rocsparse_direction_iiiNS_24const_host_device_scalarIT1_EEPKiS6_PKS3_S4_S6_S6_S8_S6_PiPS3_21rocsparse_index_base_SB_SB_b,@function
_ZN9rocsparseL39bsrgeam_block_per_row_multipass_kernel2ILj256ELj32EfEEv20rocsparse_direction_iiiNS_24const_host_device_scalarIT1_EEPKiS6_PKS3_S4_S6_S6_S8_S6_PiPS3_21rocsparse_index_base_SB_SB_b: ; @_ZN9rocsparseL39bsrgeam_block_per_row_multipass_kernel2ILj256ELj32EfEEv20rocsparse_direction_iiiNS_24const_host_device_scalarIT1_EEPKiS6_PKS3_S4_S6_S6_S8_S6_PiPS3_21rocsparse_index_base_SB_SB_b
; %bb.0:
	s_mov_b32 s18, s15
	s_clause 0x3
	s_load_b128 s[4:7], s[0:1], 0x68
	s_load_b64 s[16:17], s[0:1], 0x50
	s_load_b128 s[8:11], s[0:1], 0x10
	s_load_b128 s[12:15], s[0:1], 0x30
	s_waitcnt lgkmcnt(0)
	s_bitcmp1_b32 s7, 0
	s_cselect_b32 s2, -1, 0
	s_delay_alu instid0(SALU_CYCLE_1)
	s_and_b32 vcc_lo, exec_lo, s2
	s_xor_b32 s7, s2, -1
	s_cbranch_vccnz .LBB7_2
; %bb.1:
	s_load_b32 s8, s[8:9], 0x0
.LBB7_2:
	s_load_b64 s[2:3], s[0:1], 0x20
	s_and_not1_b32 vcc_lo, exec_lo, s7
	s_cbranch_vccnz .LBB7_4
; %bb.3:
	s_load_b32 s12, s[12:13], 0x0
.LBB7_4:
	s_ashr_i32 s19, s18, 31
	s_delay_alu instid0(SALU_CYCLE_1) | instskip(NEXT) | instid1(SALU_CYCLE_1)
	s_lshl_b64 s[18:19], s[18:19], 2
	s_add_u32 s10, s10, s18
	s_addc_u32 s11, s11, s19
	s_load_b64 s[28:29], s[10:11], 0x0
	s_load_b64 s[10:11], s[0:1], 0x8
	s_waitcnt lgkmcnt(0)
	s_sub_i32 s20, s28, s4
	s_add_u32 s22, s14, s18
	s_addc_u32 s23, s15, s19
	s_load_b64 s[14:15], s[0:1], 0x40
	s_load_b64 s[30:31], s[22:23], 0x0
	s_add_u32 s26, s16, s18
	s_addc_u32 s27, s17, s19
	s_cmp_ge_i32 s28, s29
	s_mov_b32 s13, s10
	s_cbranch_scc1 .LBB7_6
; %bb.5:
	s_ashr_i32 s21, s20, 31
	s_delay_alu instid0(SALU_CYCLE_1) | instskip(NEXT) | instid1(SALU_CYCLE_1)
	s_lshl_b64 s[16:17], s[20:21], 2
	s_add_u32 s16, s2, s16
	s_addc_u32 s17, s3, s17
	s_load_b32 s7, s[16:17], 0x0
	s_waitcnt lgkmcnt(0)
	s_sub_i32 s13, s7, s4
.LBB7_6:
	s_clause 0x2
	s_load_b128 s[16:19], s[0:1], 0x58
	s_load_b64 s[22:23], s[0:1], 0x28
	s_load_b64 s[24:25], s[0:1], 0x48
	s_load_b32 s21, s[26:27], 0x0
	s_waitcnt lgkmcnt(0)
	s_sub_i32 s26, s30, s5
	s_cmp_ge_i32 s30, s31
	s_mov_b32 s27, s10
	s_cbranch_scc1 .LBB7_8
; %bb.7:
	s_ashr_i32 s27, s26, 31
	s_delay_alu instid0(SALU_CYCLE_1) | instskip(NEXT) | instid1(SALU_CYCLE_1)
	s_lshl_b64 s[34:35], s[26:27], 2
	s_add_u32 s34, s14, s34
	s_addc_u32 s35, s15, s35
	s_load_b32 s7, s[34:35], 0x0
	s_waitcnt lgkmcnt(0)
	s_sub_i32 s27, s7, s5
.LBB7_8:
	s_load_b32 s30, s[0:1], 0x0
	v_dual_mov_b32 v2, 0 :: v_dual_and_b32 v3, 7, v0
	v_lshrrev_b32_e32 v0, 3, v0
	s_sub_i32 s7, s29, s4
	s_sub_i32 s9, s31, s5
	s_delay_alu instid0(VALU_DEP_2)
	v_or_b32_e32 v4, 8, v3
	v_cmp_gt_u32_e64 s0, s11, v3
	v_dual_mov_b32 v16, 1 :: v_dual_lshlrev_b32 v1, 5, v0
	v_cmp_gt_i32_e32 vcc_lo, s11, v0
	v_or_b32_e32 v6, 16, v3
	v_or_b32_e32 v7, 24, v3
	v_cmp_gt_u32_e64 s1, s11, v4
	s_sub_i32 s28, s21, s6
	s_min_i32 s29, s27, s13
	v_or_b32_e32 v8, v1, v3
	v_lshl_or_b32 v5, v3, 5, v0
	v_lshl_or_b32 v9, v4, 5, v0
	v_or_b32_e32 v10, v4, v1
	s_waitcnt lgkmcnt(0)
	s_cmp_lg_u32 s30, 0
	v_lshlrev_b32_e32 v11, 2, v8
	s_cselect_b32 s13, -1, 0
	s_and_b32 s30, vcc_lo, s0
	s_and_b32 s31, vcc_lo, s1
	v_cmp_gt_u32_e64 s0, s11, v6
	v_cmp_gt_u32_e64 s1, s11, v7
	v_lshl_or_b32 v12, v6, 5, v0
	v_or_b32_e32 v13, v6, v1
	v_lshl_or_b32 v14, v7, 5, v0
	v_or_b32_e32 v15, v7, v1
	s_and_b32 s33, vcc_lo, s0
	s_and_b32 s34, vcc_lo, s1
	s_mul_i32 s35, s11, s11
	s_branch .LBB7_12
.LBB7_9:                                ;   in Loop: Header=BB7_12 Depth=1
	s_delay_alu instid0(VALU_DEP_1) | instskip(SKIP_2) | instid1(VALU_DEP_1)
	v_lshlrev_b32_e32 v17, 2, v18
	ds_load_b32 v19, v17
	v_lshlrev_b64 v[17:18], 2, v[1:2]
	v_add_co_u32 v17, vcc_lo, s18, v17
	s_delay_alu instid0(VALU_DEP_2)
	v_add_co_ci_u32_e32 v18, vcc_lo, s19, v18, vcc_lo
	s_waitcnt lgkmcnt(0)
	global_store_b32 v[17:18], v19, off
.LBB7_10:                               ;   in Loop: Header=BB7_12 Depth=1
	s_or_b32 exec_lo, exec_lo, s1
.LBB7_11:                               ;   in Loop: Header=BB7_12 Depth=1
	s_waitcnt_vscnt null, 0x0
	s_barrier
	buffer_gl0_inv
	ds_load_b32 v1, v2 offset:4096
	s_mov_b32 s29, s27
	s_waitcnt lgkmcnt(0)
	s_barrier
	buffer_gl0_inv
	v_readfirstlane_b32 s0, v1
	s_delay_alu instid0(VALU_DEP_1)
	s_add_i32 s28, s0, s28
	s_cmp_lt_i32 s27, s10
	s_cbranch_scc0 .LBB7_104
.LBB7_12:                               ; =>This Loop Header: Depth=1
                                        ;     Child Loop BB7_15 Depth 2
                                        ;     Child Loop BB7_49 Depth 2
	s_cmp_ge_i32 s20, s7
	ds_store_b32 v2, v2 offset:4096
	ds_store_2addr_b32 v11, v2, v2 offset1:8
	ds_store_2addr_b32 v11, v2, v2 offset0:16 offset1:24
	s_waitcnt lgkmcnt(0)
	s_barrier
	buffer_gl0_inv
	s_cbranch_scc1 .LBB7_45
; %bb.13:                               ;   in Loop: Header=BB7_12 Depth=1
	s_mul_i32 s0, s11, s20
	s_ashr_i32 s21, s20, 31
	v_add_nc_u32_e32 v1, s0, v3
	v_dual_mov_b32 v21, v0 :: v_dual_add_nc_u32 v18, s0, v4
	v_add_nc_u32_e32 v19, s0, v6
	v_add_nc_u32_e32 v20, s0, v7
	s_delay_alu instid0(VALU_DEP_4) | instskip(NEXT) | instid1(VALU_DEP_4)
	v_mul_lo_u32 v17, s11, v1
	v_mul_lo_u32 v18, s11, v18
	s_lshl_b64 s[0:1], s[20:21], 2
	v_mul_lo_u32 v19, s11, v19
	v_mul_lo_u32 v20, s11, v20
	s_add_u32 s0, s2, s0
	s_addc_u32 s1, s3, s1
	s_mov_b32 s27, s10
	s_branch .LBB7_15
.LBB7_14:                               ;   in Loop: Header=BB7_15 Depth=2
	s_add_i32 s20, s20, 1
	s_add_u32 s0, s0, 4
	v_add_nc_u32_e32 v21, s35, v21
	s_addc_u32 s1, s1, 0
	s_cmp_ge_i32 s20, s7
	s_cselect_b32 s27, -1, 0
	s_delay_alu instid0(SALU_CYCLE_1)
	s_and_not1_b32 vcc_lo, exec_lo, s27
	s_mov_b32 s27, s21
	s_cbranch_vccz .LBB7_46
.LBB7_15:                               ;   Parent Loop BB7_12 Depth=1
                                        ; =>  This Inner Loop Header: Depth=2
	s_load_b32 s21, s[0:1], 0x0
	s_mov_b32 s37, -1
	s_waitcnt lgkmcnt(0)
	s_sub_i32 s38, s21, s4
                                        ; implicit-def: $sgpr21
	s_delay_alu instid0(SALU_CYCLE_1)
	s_cmp_eq_u32 s38, s29
	s_cselect_b32 s36, -1, 0
	s_cmp_lg_u32 s38, s29
	s_cbranch_scc1 .LBB7_18
; %bb.16:                               ;   in Loop: Header=BB7_15 Depth=2
	s_and_not1_b32 vcc_lo, exec_lo, s37
	s_cbranch_vccz .LBB7_19
.LBB7_17:                               ;   in Loop: Header=BB7_15 Depth=2
	s_and_not1_b32 vcc_lo, exec_lo, s36
	s_cbranch_vccz .LBB7_14
	s_branch .LBB7_40
.LBB7_18:                               ;   in Loop: Header=BB7_15 Depth=2
	s_min_i32 s21, s38, s27
	s_cbranch_execnz .LBB7_17
.LBB7_19:                               ;   in Loop: Header=BB7_15 Depth=2
	v_mad_u64_u32 v[22:23], null, s20, s11, v[0:1]
	ds_store_b32 v2, v16 offset:4096
	v_mul_lo_u32 v22, v22, s11
	s_and_saveexec_b32 s21, s30
	s_cbranch_execnz .LBB7_23
; %bb.20:                               ;   in Loop: Header=BB7_15 Depth=2
	s_or_b32 exec_lo, exec_lo, s21
	s_and_saveexec_b32 s21, s31
	s_cbranch_execnz .LBB7_27
.LBB7_21:                               ;   in Loop: Header=BB7_15 Depth=2
	s_or_b32 exec_lo, exec_lo, s21
	s_and_saveexec_b32 s21, s33
	s_cbranch_execnz .LBB7_31
.LBB7_22:                               ;   in Loop: Header=BB7_15 Depth=2
	s_or_b32 exec_lo, exec_lo, s21
	s_and_saveexec_b32 s21, s34
	s_cbranch_execnz .LBB7_35
	s_branch .LBB7_39
.LBB7_23:                               ;   in Loop: Header=BB7_15 Depth=2
	s_and_b32 vcc_lo, exec_lo, s13
	s_cbranch_vccz .LBB7_41
; %bb.24:                               ;   in Loop: Header=BB7_15 Depth=2
	v_add_nc_u32_e32 v1, v17, v21
	v_mov_b32_e32 v23, v5
	s_cbranch_execnz .LBB7_26
.LBB7_25:                               ;   in Loop: Header=BB7_15 Depth=2
	s_delay_alu instid0(VALU_DEP_2)
	v_add_nc_u32_e32 v1, v22, v3
	v_mov_b32_e32 v23, v8
.LBB7_26:                               ;   in Loop: Header=BB7_15 Depth=2
	s_delay_alu instid0(VALU_DEP_2) | instskip(NEXT) | instid1(VALU_DEP_2)
	v_lshlrev_b64 v[24:25], 2, v[1:2]
	v_lshlrev_b32_e32 v23, 2, v23
	s_delay_alu instid0(VALU_DEP_2) | instskip(NEXT) | instid1(VALU_DEP_3)
	v_add_co_u32 v24, vcc_lo, s22, v24
	v_add_co_ci_u32_e32 v25, vcc_lo, s23, v25, vcc_lo
	global_load_b32 v1, v[24:25], off
	s_waitcnt vmcnt(0)
	v_mul_f32_e32 v1, s8, v1
	ds_store_b32 v23, v1
	s_or_b32 exec_lo, exec_lo, s21
	s_and_saveexec_b32 s21, s31
	s_cbranch_execz .LBB7_21
.LBB7_27:                               ;   in Loop: Header=BB7_15 Depth=2
	s_and_not1_b32 vcc_lo, exec_lo, s13
	s_cbranch_vccnz .LBB7_42
; %bb.28:                               ;   in Loop: Header=BB7_15 Depth=2
	v_add_nc_u32_e32 v1, v18, v21
	v_mov_b32_e32 v23, v9
	s_cbranch_execnz .LBB7_30
.LBB7_29:                               ;   in Loop: Header=BB7_15 Depth=2
	v_add_nc_u32_e32 v1, v22, v4
	v_mov_b32_e32 v23, v10
.LBB7_30:                               ;   in Loop: Header=BB7_15 Depth=2
	s_delay_alu instid0(VALU_DEP_2) | instskip(NEXT) | instid1(VALU_DEP_2)
	v_lshlrev_b64 v[24:25], 2, v[1:2]
	v_lshlrev_b32_e32 v23, 2, v23
	s_delay_alu instid0(VALU_DEP_2) | instskip(NEXT) | instid1(VALU_DEP_3)
	v_add_co_u32 v24, vcc_lo, s22, v24
	v_add_co_ci_u32_e32 v25, vcc_lo, s23, v25, vcc_lo
	global_load_b32 v1, v[24:25], off
	s_waitcnt vmcnt(0)
	v_mul_f32_e32 v1, s8, v1
	ds_store_b32 v23, v1
	s_or_b32 exec_lo, exec_lo, s21
	s_and_saveexec_b32 s21, s33
	s_cbranch_execz .LBB7_22
.LBB7_31:                               ;   in Loop: Header=BB7_15 Depth=2
	s_and_not1_b32 vcc_lo, exec_lo, s13
	s_cbranch_vccnz .LBB7_43
; %bb.32:                               ;   in Loop: Header=BB7_15 Depth=2
	v_add_nc_u32_e32 v1, v19, v21
	v_mov_b32_e32 v23, v12
	s_cbranch_execnz .LBB7_34
.LBB7_33:                               ;   in Loop: Header=BB7_15 Depth=2
	v_add_nc_u32_e32 v1, v22, v6
	v_mov_b32_e32 v23, v13
.LBB7_34:                               ;   in Loop: Header=BB7_15 Depth=2
	s_delay_alu instid0(VALU_DEP_2) | instskip(NEXT) | instid1(VALU_DEP_2)
	v_lshlrev_b64 v[24:25], 2, v[1:2]
	v_lshlrev_b32_e32 v23, 2, v23
	s_delay_alu instid0(VALU_DEP_2) | instskip(NEXT) | instid1(VALU_DEP_3)
	v_add_co_u32 v24, vcc_lo, s22, v24
	v_add_co_ci_u32_e32 v25, vcc_lo, s23, v25, vcc_lo
	global_load_b32 v1, v[24:25], off
	s_waitcnt vmcnt(0)
	v_mul_f32_e32 v1, s8, v1
	ds_store_b32 v23, v1
	s_or_b32 exec_lo, exec_lo, s21
	s_and_saveexec_b32 s21, s34
	s_cbranch_execz .LBB7_39
.LBB7_35:                               ;   in Loop: Header=BB7_15 Depth=2
	s_and_not1_b32 vcc_lo, exec_lo, s13
	s_cbranch_vccnz .LBB7_44
; %bb.36:                               ;   in Loop: Header=BB7_15 Depth=2
	v_add_nc_u32_e32 v1, v20, v21
	v_mov_b32_e32 v23, v14
	s_cbranch_execnz .LBB7_38
.LBB7_37:                               ;   in Loop: Header=BB7_15 Depth=2
	v_add_nc_u32_e32 v1, v22, v7
	v_mov_b32_e32 v23, v15
.LBB7_38:                               ;   in Loop: Header=BB7_15 Depth=2
	s_delay_alu instid0(VALU_DEP_2) | instskip(NEXT) | instid1(VALU_DEP_1)
	v_lshlrev_b64 v[24:25], 2, v[1:2]
	v_add_co_u32 v24, vcc_lo, s22, v24
	s_delay_alu instid0(VALU_DEP_2)
	v_add_co_ci_u32_e32 v25, vcc_lo, s23, v25, vcc_lo
	global_load_b32 v1, v[24:25], off
	s_waitcnt vmcnt(0)
	v_dual_mul_f32 v1, s8, v1 :: v_dual_lshlrev_b32 v22, 2, v23
	ds_store_b32 v22, v1
.LBB7_39:                               ;   in Loop: Header=BB7_15 Depth=2
	s_or_b32 exec_lo, exec_lo, s21
	s_mov_b32 s21, s27
	s_and_not1_b32 vcc_lo, exec_lo, s36
	s_cbranch_vccz .LBB7_14
.LBB7_40:                               ;   in Loop: Header=BB7_12 Depth=1
                                        ; implicit-def: $vgpr21
                                        ; implicit-def: $sgpr0_sgpr1
	s_mov_b32 s27, s21
	s_branch .LBB7_46
.LBB7_41:                               ;   in Loop: Header=BB7_15 Depth=2
	v_mov_b32_e32 v23, v5
	s_branch .LBB7_25
.LBB7_42:                               ;   in Loop: Header=BB7_15 Depth=2
	v_mov_b32_e32 v23, v9
	s_branch .LBB7_29
.LBB7_43:                               ;   in Loop: Header=BB7_15 Depth=2
	v_mov_b32_e32 v23, v12
	s_branch .LBB7_33
.LBB7_44:                               ;   in Loop: Header=BB7_15 Depth=2
	v_mov_b32_e32 v23, v14
	s_branch .LBB7_37
.LBB7_45:                               ;   in Loop: Header=BB7_12 Depth=1
	s_mov_b32 s21, s10
.LBB7_46:                               ;   in Loop: Header=BB7_12 Depth=1
	s_cmp_ge_i32 s26, s9
	s_waitcnt lgkmcnt(0)
	s_barrier
	buffer_gl0_inv
	s_cbranch_scc1 .LBB7_79
; %bb.47:                               ;   in Loop: Header=BB7_12 Depth=1
	s_mul_i32 s0, s11, s26
	s_ashr_i32 s27, s26, 31
	v_add_nc_u32_e32 v1, s0, v3
	v_dual_mov_b32 v21, v0 :: v_dual_add_nc_u32 v18, s0, v4
	v_add_nc_u32_e32 v19, s0, v6
	v_add_nc_u32_e32 v20, s0, v7
	s_delay_alu instid0(VALU_DEP_4) | instskip(NEXT) | instid1(VALU_DEP_4)
	v_mul_lo_u32 v17, s11, v1
	v_mul_lo_u32 v18, s11, v18
	s_lshl_b64 s[0:1], s[26:27], 2
	v_mul_lo_u32 v19, s11, v19
	v_mul_lo_u32 v20, s11, v20
	s_add_u32 s0, s14, s0
	s_addc_u32 s1, s15, s1
	s_branch .LBB7_49
.LBB7_48:                               ;   in Loop: Header=BB7_49 Depth=2
	s_add_i32 s26, s26, 1
	s_add_u32 s0, s0, 4
	v_add_nc_u32_e32 v21, s35, v21
	s_addc_u32 s1, s1, 0
	s_cmp_ge_i32 s26, s9
	s_cselect_b32 s21, -1, 0
	s_delay_alu instid0(SALU_CYCLE_1)
	s_and_not1_b32 vcc_lo, exec_lo, s21
	s_mov_b32 s21, s27
	s_cbranch_vccz .LBB7_80
.LBB7_49:                               ;   Parent Loop BB7_12 Depth=1
                                        ; =>  This Inner Loop Header: Depth=2
	s_load_b32 s27, s[0:1], 0x0
	s_mov_b32 s37, -1
	s_waitcnt lgkmcnt(0)
	s_sub_i32 s38, s27, s5
                                        ; implicit-def: $sgpr27
	s_delay_alu instid0(SALU_CYCLE_1)
	s_cmp_eq_u32 s38, s29
	s_cselect_b32 s36, -1, 0
	s_cmp_lg_u32 s38, s29
	s_cbranch_scc1 .LBB7_52
; %bb.50:                               ;   in Loop: Header=BB7_49 Depth=2
	s_and_not1_b32 vcc_lo, exec_lo, s37
	s_cbranch_vccz .LBB7_53
.LBB7_51:                               ;   in Loop: Header=BB7_49 Depth=2
	s_and_not1_b32 vcc_lo, exec_lo, s36
	s_cbranch_vccz .LBB7_48
	s_branch .LBB7_74
.LBB7_52:                               ;   in Loop: Header=BB7_49 Depth=2
	s_min_i32 s27, s38, s21
	s_cbranch_execnz .LBB7_51
.LBB7_53:                               ;   in Loop: Header=BB7_49 Depth=2
	v_mad_u64_u32 v[22:23], null, s26, s11, v[0:1]
	ds_store_b32 v2, v16 offset:4096
	v_mul_lo_u32 v22, v22, s11
	s_and_saveexec_b32 s27, s30
	s_cbranch_execnz .LBB7_57
; %bb.54:                               ;   in Loop: Header=BB7_49 Depth=2
	s_or_b32 exec_lo, exec_lo, s27
	s_and_saveexec_b32 s27, s31
	s_cbranch_execnz .LBB7_61
.LBB7_55:                               ;   in Loop: Header=BB7_49 Depth=2
	s_or_b32 exec_lo, exec_lo, s27
	s_and_saveexec_b32 s27, s33
	s_cbranch_execnz .LBB7_65
.LBB7_56:                               ;   in Loop: Header=BB7_49 Depth=2
	s_or_b32 exec_lo, exec_lo, s27
	s_and_saveexec_b32 s27, s34
	s_cbranch_execnz .LBB7_69
	s_branch .LBB7_73
.LBB7_57:                               ;   in Loop: Header=BB7_49 Depth=2
	s_and_b32 vcc_lo, exec_lo, s13
	s_cbranch_vccz .LBB7_75
; %bb.58:                               ;   in Loop: Header=BB7_49 Depth=2
	v_add_nc_u32_e32 v1, v17, v21
	v_mov_b32_e32 v23, v5
	s_cbranch_execnz .LBB7_60
.LBB7_59:                               ;   in Loop: Header=BB7_49 Depth=2
	s_delay_alu instid0(VALU_DEP_2)
	v_add_nc_u32_e32 v1, v22, v3
	v_mov_b32_e32 v23, v8
.LBB7_60:                               ;   in Loop: Header=BB7_49 Depth=2
	s_delay_alu instid0(VALU_DEP_2) | instskip(NEXT) | instid1(VALU_DEP_1)
	v_lshlrev_b64 v[24:25], 2, v[1:2]
	v_add_co_u32 v24, vcc_lo, s24, v24
	s_delay_alu instid0(VALU_DEP_2)
	v_add_co_ci_u32_e32 v25, vcc_lo, s25, v25, vcc_lo
	global_load_b32 v1, v[24:25], off
	v_lshlrev_b32_e32 v23, 2, v23
	ds_load_b32 v24, v23
	s_waitcnt vmcnt(0) lgkmcnt(0)
	v_fmac_f32_e32 v24, s12, v1
	ds_store_b32 v23, v24
	s_or_b32 exec_lo, exec_lo, s27
	s_and_saveexec_b32 s27, s31
	s_cbranch_execz .LBB7_55
.LBB7_61:                               ;   in Loop: Header=BB7_49 Depth=2
	s_and_not1_b32 vcc_lo, exec_lo, s13
	s_cbranch_vccnz .LBB7_76
; %bb.62:                               ;   in Loop: Header=BB7_49 Depth=2
	v_add_nc_u32_e32 v1, v18, v21
	v_mov_b32_e32 v23, v9
	s_cbranch_execnz .LBB7_64
.LBB7_63:                               ;   in Loop: Header=BB7_49 Depth=2
	v_add_nc_u32_e32 v1, v22, v4
	v_mov_b32_e32 v23, v10
.LBB7_64:                               ;   in Loop: Header=BB7_49 Depth=2
	s_delay_alu instid0(VALU_DEP_2) | instskip(NEXT) | instid1(VALU_DEP_1)
	v_lshlrev_b64 v[24:25], 2, v[1:2]
	v_add_co_u32 v24, vcc_lo, s24, v24
	s_delay_alu instid0(VALU_DEP_2)
	v_add_co_ci_u32_e32 v25, vcc_lo, s25, v25, vcc_lo
	global_load_b32 v1, v[24:25], off
	v_lshlrev_b32_e32 v23, 2, v23
	ds_load_b32 v24, v23
	s_waitcnt vmcnt(0) lgkmcnt(0)
	v_fmac_f32_e32 v24, s12, v1
	ds_store_b32 v23, v24
	s_or_b32 exec_lo, exec_lo, s27
	s_and_saveexec_b32 s27, s33
	s_cbranch_execz .LBB7_56
.LBB7_65:                               ;   in Loop: Header=BB7_49 Depth=2
	s_and_not1_b32 vcc_lo, exec_lo, s13
	s_cbranch_vccnz .LBB7_77
; %bb.66:                               ;   in Loop: Header=BB7_49 Depth=2
	v_add_nc_u32_e32 v1, v19, v21
	v_mov_b32_e32 v23, v12
	s_cbranch_execnz .LBB7_68
.LBB7_67:                               ;   in Loop: Header=BB7_49 Depth=2
	v_add_nc_u32_e32 v1, v22, v6
	v_mov_b32_e32 v23, v13
.LBB7_68:                               ;   in Loop: Header=BB7_49 Depth=2
	s_delay_alu instid0(VALU_DEP_2) | instskip(NEXT) | instid1(VALU_DEP_1)
	v_lshlrev_b64 v[24:25], 2, v[1:2]
	v_add_co_u32 v24, vcc_lo, s24, v24
	s_delay_alu instid0(VALU_DEP_2)
	v_add_co_ci_u32_e32 v25, vcc_lo, s25, v25, vcc_lo
	global_load_b32 v1, v[24:25], off
	v_lshlrev_b32_e32 v23, 2, v23
	ds_load_b32 v24, v23
	s_waitcnt vmcnt(0) lgkmcnt(0)
	v_fmac_f32_e32 v24, s12, v1
	ds_store_b32 v23, v24
	s_or_b32 exec_lo, exec_lo, s27
	s_and_saveexec_b32 s27, s34
	s_cbranch_execz .LBB7_73
.LBB7_69:                               ;   in Loop: Header=BB7_49 Depth=2
	s_and_not1_b32 vcc_lo, exec_lo, s13
	s_cbranch_vccnz .LBB7_78
; %bb.70:                               ;   in Loop: Header=BB7_49 Depth=2
	v_add_nc_u32_e32 v1, v20, v21
	v_mov_b32_e32 v23, v14
	s_cbranch_execnz .LBB7_72
.LBB7_71:                               ;   in Loop: Header=BB7_49 Depth=2
	v_add_nc_u32_e32 v1, v22, v7
	v_mov_b32_e32 v23, v15
.LBB7_72:                               ;   in Loop: Header=BB7_49 Depth=2
	s_delay_alu instid0(VALU_DEP_2) | instskip(NEXT) | instid1(VALU_DEP_1)
	v_lshlrev_b64 v[24:25], 2, v[1:2]
	v_add_co_u32 v24, vcc_lo, s24, v24
	s_delay_alu instid0(VALU_DEP_2)
	v_add_co_ci_u32_e32 v25, vcc_lo, s25, v25, vcc_lo
	global_load_b32 v1, v[24:25], off
	v_lshlrev_b32_e32 v22, 2, v23
	ds_load_b32 v23, v22
	s_waitcnt vmcnt(0) lgkmcnt(0)
	v_fmac_f32_e32 v23, s12, v1
	ds_store_b32 v22, v23
.LBB7_73:                               ;   in Loop: Header=BB7_49 Depth=2
	s_or_b32 exec_lo, exec_lo, s27
	s_mov_b32 s27, s21
	s_and_not1_b32 vcc_lo, exec_lo, s36
	s_cbranch_vccz .LBB7_48
.LBB7_74:                               ;   in Loop: Header=BB7_12 Depth=1
                                        ; implicit-def: $vgpr21
                                        ; implicit-def: $sgpr0_sgpr1
	s_mov_b32 s21, s27
	s_branch .LBB7_80
.LBB7_75:                               ;   in Loop: Header=BB7_49 Depth=2
	v_mov_b32_e32 v23, v5
	s_branch .LBB7_59
.LBB7_76:                               ;   in Loop: Header=BB7_49 Depth=2
	v_mov_b32_e32 v23, v9
	s_branch .LBB7_63
.LBB7_77:                               ;   in Loop: Header=BB7_49 Depth=2
	v_mov_b32_e32 v23, v12
	s_branch .LBB7_67
.LBB7_78:                               ;   in Loop: Header=BB7_49 Depth=2
	v_mov_b32_e32 v23, v14
	s_branch .LBB7_71
.LBB7_79:                               ;   in Loop: Header=BB7_12 Depth=1
	s_mov_b32 s27, s21
.LBB7_80:                               ;   in Loop: Header=BB7_12 Depth=1
	s_waitcnt lgkmcnt(0)
	s_barrier
	buffer_gl0_inv
	ds_load_b32 v1, v2 offset:4096
	s_waitcnt lgkmcnt(0)
	v_cmp_eq_u32_e32 vcc_lo, 0, v1
	s_cbranch_vccnz .LBB7_11
; %bb.81:                               ;   in Loop: Header=BB7_12 Depth=1
	s_mul_i32 s0, s28, s11
	s_add_i32 s1, s29, s6
	v_add_nc_u32_e32 v1, s0, v0
	s_ashr_i32 s29, s28, 31
	s_delay_alu instid0(SALU_CYCLE_1) | instskip(NEXT) | instid1(SALU_CYCLE_1)
	s_lshl_b64 s[36:37], s[28:29], 2
	s_add_u32 s36, s16, s36
	s_delay_alu instid0(VALU_DEP_1)
	v_mul_lo_u32 v17, v1, s11
	v_mov_b32_e32 v1, s1
	s_addc_u32 s37, s17, s37
	global_store_b32 v2, v1, s[36:37]
	s_and_saveexec_b32 s1, s30
	s_cbranch_execnz .LBB7_85
; %bb.82:                               ;   in Loop: Header=BB7_12 Depth=1
	s_or_b32 exec_lo, exec_lo, s1
	s_and_saveexec_b32 s1, s31
	s_cbranch_execnz .LBB7_89
.LBB7_83:                               ;   in Loop: Header=BB7_12 Depth=1
	s_or_b32 exec_lo, exec_lo, s1
	s_and_saveexec_b32 s1, s33
	s_cbranch_execnz .LBB7_93
.LBB7_84:                               ;   in Loop: Header=BB7_12 Depth=1
	s_or_b32 exec_lo, exec_lo, s1
	s_and_saveexec_b32 s1, s34
	s_cbranch_execz .LBB7_10
	s_branch .LBB7_97
.LBB7_85:                               ;   in Loop: Header=BB7_12 Depth=1
	s_and_b32 vcc_lo, exec_lo, s13
	s_cbranch_vccz .LBB7_99
; %bb.86:                               ;   in Loop: Header=BB7_12 Depth=1
	v_add_nc_u32_e32 v1, s0, v3
	s_delay_alu instid0(VALU_DEP_1) | instskip(NEXT) | instid1(VALU_DEP_1)
	v_mad_u64_u32 v[18:19], null, v1, s11, v[0:1]
	v_dual_mov_b32 v1, v18 :: v_dual_mov_b32 v18, v5
	s_cbranch_execnz .LBB7_88
.LBB7_87:                               ;   in Loop: Header=BB7_12 Depth=1
	v_dual_mov_b32 v18, v8 :: v_dual_add_nc_u32 v1, v17, v3
.LBB7_88:                               ;   in Loop: Header=BB7_12 Depth=1
	s_delay_alu instid0(VALU_DEP_1) | instskip(SKIP_2) | instid1(VALU_DEP_1)
	v_lshlrev_b32_e32 v18, 2, v18
	ds_load_b32 v20, v18
	v_lshlrev_b64 v[18:19], 2, v[1:2]
	v_add_co_u32 v18, vcc_lo, s18, v18
	s_delay_alu instid0(VALU_DEP_2)
	v_add_co_ci_u32_e32 v19, vcc_lo, s19, v19, vcc_lo
	s_waitcnt lgkmcnt(0)
	global_store_b32 v[18:19], v20, off
	s_or_b32 exec_lo, exec_lo, s1
	s_and_saveexec_b32 s1, s31
	s_cbranch_execz .LBB7_83
.LBB7_89:                               ;   in Loop: Header=BB7_12 Depth=1
	s_and_not1_b32 vcc_lo, exec_lo, s13
	s_cbranch_vccnz .LBB7_100
; %bb.90:                               ;   in Loop: Header=BB7_12 Depth=1
	v_add_nc_u32_e32 v1, s0, v4
	s_delay_alu instid0(VALU_DEP_1) | instskip(NEXT) | instid1(VALU_DEP_1)
	v_mad_u64_u32 v[18:19], null, v1, s11, v[0:1]
	v_dual_mov_b32 v1, v18 :: v_dual_mov_b32 v18, v9
	s_cbranch_execnz .LBB7_92
.LBB7_91:                               ;   in Loop: Header=BB7_12 Depth=1
	v_dual_mov_b32 v18, v10 :: v_dual_add_nc_u32 v1, v17, v4
.LBB7_92:                               ;   in Loop: Header=BB7_12 Depth=1
	s_delay_alu instid0(VALU_DEP_1) | instskip(SKIP_2) | instid1(VALU_DEP_1)
	v_lshlrev_b32_e32 v18, 2, v18
	ds_load_b32 v20, v18
	v_lshlrev_b64 v[18:19], 2, v[1:2]
	v_add_co_u32 v18, vcc_lo, s18, v18
	s_delay_alu instid0(VALU_DEP_2)
	v_add_co_ci_u32_e32 v19, vcc_lo, s19, v19, vcc_lo
	s_waitcnt lgkmcnt(0)
	global_store_b32 v[18:19], v20, off
	s_or_b32 exec_lo, exec_lo, s1
	s_and_saveexec_b32 s1, s33
	s_cbranch_execz .LBB7_84
.LBB7_93:                               ;   in Loop: Header=BB7_12 Depth=1
	s_and_not1_b32 vcc_lo, exec_lo, s13
	s_cbranch_vccnz .LBB7_101
; %bb.94:                               ;   in Loop: Header=BB7_12 Depth=1
	v_add_nc_u32_e32 v1, s0, v6
	s_delay_alu instid0(VALU_DEP_1) | instskip(NEXT) | instid1(VALU_DEP_1)
	v_mad_u64_u32 v[18:19], null, v1, s11, v[0:1]
	v_dual_mov_b32 v1, v18 :: v_dual_mov_b32 v18, v12
	s_cbranch_execnz .LBB7_96
.LBB7_95:                               ;   in Loop: Header=BB7_12 Depth=1
	v_add_nc_u32_e32 v1, v17, v6
	v_mov_b32_e32 v18, v13
.LBB7_96:                               ;   in Loop: Header=BB7_12 Depth=1
	s_delay_alu instid0(VALU_DEP_1) | instskip(SKIP_2) | instid1(VALU_DEP_1)
	v_lshlrev_b32_e32 v18, 2, v18
	ds_load_b32 v20, v18
	v_lshlrev_b64 v[18:19], 2, v[1:2]
	v_add_co_u32 v18, vcc_lo, s18, v18
	s_delay_alu instid0(VALU_DEP_2)
	v_add_co_ci_u32_e32 v19, vcc_lo, s19, v19, vcc_lo
	s_waitcnt lgkmcnt(0)
	global_store_b32 v[18:19], v20, off
	s_or_b32 exec_lo, exec_lo, s1
	s_and_saveexec_b32 s1, s34
	s_cbranch_execz .LBB7_10
.LBB7_97:                               ;   in Loop: Header=BB7_12 Depth=1
	s_and_not1_b32 vcc_lo, exec_lo, s13
	s_cbranch_vccnz .LBB7_102
; %bb.98:                               ;   in Loop: Header=BB7_12 Depth=1
	v_add_nc_u32_e32 v1, s0, v7
	s_delay_alu instid0(VALU_DEP_1) | instskip(NEXT) | instid1(VALU_DEP_1)
	v_mad_u64_u32 v[18:19], null, v1, s11, v[0:1]
	v_mov_b32_e32 v1, v18
	v_mov_b32_e32 v18, v14
	s_cbranch_execnz .LBB7_9
	s_branch .LBB7_103
.LBB7_99:                               ;   in Loop: Header=BB7_12 Depth=1
	v_mov_b32_e32 v18, v5
	s_branch .LBB7_87
.LBB7_100:                              ;   in Loop: Header=BB7_12 Depth=1
	v_mov_b32_e32 v18, v9
	s_branch .LBB7_91
.LBB7_101:                              ;   in Loop: Header=BB7_12 Depth=1
	v_mov_b32_e32 v18, v12
	s_branch .LBB7_95
.LBB7_102:                              ;   in Loop: Header=BB7_12 Depth=1
	v_mov_b32_e32 v18, v14
.LBB7_103:                              ;   in Loop: Header=BB7_12 Depth=1
	v_dual_mov_b32 v18, v15 :: v_dual_add_nc_u32 v1, v17, v7
	s_branch .LBB7_9
.LBB7_104:
	s_endpgm
	.section	.rodata,"a",@progbits
	.p2align	6, 0x0
	.amdhsa_kernel _ZN9rocsparseL39bsrgeam_block_per_row_multipass_kernel2ILj256ELj32EfEEv20rocsparse_direction_iiiNS_24const_host_device_scalarIT1_EEPKiS6_PKS3_S4_S6_S6_S8_S6_PiPS3_21rocsparse_index_base_SB_SB_b
		.amdhsa_group_segment_fixed_size 4100
		.amdhsa_private_segment_fixed_size 0
		.amdhsa_kernarg_size 120
		.amdhsa_user_sgpr_count 15
		.amdhsa_user_sgpr_dispatch_ptr 0
		.amdhsa_user_sgpr_queue_ptr 0
		.amdhsa_user_sgpr_kernarg_segment_ptr 1
		.amdhsa_user_sgpr_dispatch_id 0
		.amdhsa_user_sgpr_private_segment_size 0
		.amdhsa_wavefront_size32 1
		.amdhsa_uses_dynamic_stack 0
		.amdhsa_enable_private_segment 0
		.amdhsa_system_sgpr_workgroup_id_x 1
		.amdhsa_system_sgpr_workgroup_id_y 0
		.amdhsa_system_sgpr_workgroup_id_z 0
		.amdhsa_system_sgpr_workgroup_info 0
		.amdhsa_system_vgpr_workitem_id 0
		.amdhsa_next_free_vgpr 26
		.amdhsa_next_free_sgpr 39
		.amdhsa_reserve_vcc 1
		.amdhsa_float_round_mode_32 0
		.amdhsa_float_round_mode_16_64 0
		.amdhsa_float_denorm_mode_32 3
		.amdhsa_float_denorm_mode_16_64 3
		.amdhsa_dx10_clamp 1
		.amdhsa_ieee_mode 1
		.amdhsa_fp16_overflow 0
		.amdhsa_workgroup_processor_mode 1
		.amdhsa_memory_ordered 1
		.amdhsa_forward_progress 0
		.amdhsa_shared_vgpr_count 0
		.amdhsa_exception_fp_ieee_invalid_op 0
		.amdhsa_exception_fp_denorm_src 0
		.amdhsa_exception_fp_ieee_div_zero 0
		.amdhsa_exception_fp_ieee_overflow 0
		.amdhsa_exception_fp_ieee_underflow 0
		.amdhsa_exception_fp_ieee_inexact 0
		.amdhsa_exception_int_div_zero 0
	.end_amdhsa_kernel
	.section	.text._ZN9rocsparseL39bsrgeam_block_per_row_multipass_kernel2ILj256ELj32EfEEv20rocsparse_direction_iiiNS_24const_host_device_scalarIT1_EEPKiS6_PKS3_S4_S6_S6_S8_S6_PiPS3_21rocsparse_index_base_SB_SB_b,"axG",@progbits,_ZN9rocsparseL39bsrgeam_block_per_row_multipass_kernel2ILj256ELj32EfEEv20rocsparse_direction_iiiNS_24const_host_device_scalarIT1_EEPKiS6_PKS3_S4_S6_S6_S8_S6_PiPS3_21rocsparse_index_base_SB_SB_b,comdat
.Lfunc_end7:
	.size	_ZN9rocsparseL39bsrgeam_block_per_row_multipass_kernel2ILj256ELj32EfEEv20rocsparse_direction_iiiNS_24const_host_device_scalarIT1_EEPKiS6_PKS3_S4_S6_S6_S8_S6_PiPS3_21rocsparse_index_base_SB_SB_b, .Lfunc_end7-_ZN9rocsparseL39bsrgeam_block_per_row_multipass_kernel2ILj256ELj32EfEEv20rocsparse_direction_iiiNS_24const_host_device_scalarIT1_EEPKiS6_PKS3_S4_S6_S6_S8_S6_PiPS3_21rocsparse_index_base_SB_SB_b
                                        ; -- End function
	.section	.AMDGPU.csdata,"",@progbits
; Kernel info:
; codeLenInByte = 2668
; NumSgprs: 41
; NumVgprs: 26
; ScratchSize: 0
; MemoryBound: 0
; FloatMode: 240
; IeeeMode: 1
; LDSByteSize: 4100 bytes/workgroup (compile time only)
; SGPRBlocks: 5
; VGPRBlocks: 3
; NumSGPRsForWavesPerEU: 41
; NumVGPRsForWavesPerEU: 26
; Occupancy: 16
; WaveLimiterHint : 1
; COMPUTE_PGM_RSRC2:SCRATCH_EN: 0
; COMPUTE_PGM_RSRC2:USER_SGPR: 15
; COMPUTE_PGM_RSRC2:TRAP_HANDLER: 0
; COMPUTE_PGM_RSRC2:TGID_X_EN: 1
; COMPUTE_PGM_RSRC2:TGID_Y_EN: 0
; COMPUTE_PGM_RSRC2:TGID_Z_EN: 0
; COMPUTE_PGM_RSRC2:TIDIG_COMP_CNT: 0
	.section	.text._ZN9rocsparseL39bsrgeam_wf_per_row_multipass_2_3_kernelILj256ELj2ELj32EdEEv20rocsparse_direction_iiiNS_24const_host_device_scalarIT2_EEPKiS6_PKS3_S4_S6_S6_S8_S6_PiPS3_21rocsparse_index_base_SB_SB_b,"axG",@progbits,_ZN9rocsparseL39bsrgeam_wf_per_row_multipass_2_3_kernelILj256ELj2ELj32EdEEv20rocsparse_direction_iiiNS_24const_host_device_scalarIT2_EEPKiS6_PKS3_S4_S6_S6_S8_S6_PiPS3_21rocsparse_index_base_SB_SB_b,comdat
	.globl	_ZN9rocsparseL39bsrgeam_wf_per_row_multipass_2_3_kernelILj256ELj2ELj32EdEEv20rocsparse_direction_iiiNS_24const_host_device_scalarIT2_EEPKiS6_PKS3_S4_S6_S6_S8_S6_PiPS3_21rocsparse_index_base_SB_SB_b ; -- Begin function _ZN9rocsparseL39bsrgeam_wf_per_row_multipass_2_3_kernelILj256ELj2ELj32EdEEv20rocsparse_direction_iiiNS_24const_host_device_scalarIT2_EEPKiS6_PKS3_S4_S6_S6_S8_S6_PiPS3_21rocsparse_index_base_SB_SB_b
	.p2align	8
	.type	_ZN9rocsparseL39bsrgeam_wf_per_row_multipass_2_3_kernelILj256ELj2ELj32EdEEv20rocsparse_direction_iiiNS_24const_host_device_scalarIT2_EEPKiS6_PKS3_S4_S6_S6_S8_S6_PiPS3_21rocsparse_index_base_SB_SB_b,@function
_ZN9rocsparseL39bsrgeam_wf_per_row_multipass_2_3_kernelILj256ELj2ELj32EdEEv20rocsparse_direction_iiiNS_24const_host_device_scalarIT2_EEPKiS6_PKS3_S4_S6_S6_S8_S6_PiPS3_21rocsparse_index_base_SB_SB_b: ; @_ZN9rocsparseL39bsrgeam_wf_per_row_multipass_2_3_kernelILj256ELj2ELj32EdEEv20rocsparse_direction_iiiNS_24const_host_device_scalarIT2_EEPKiS6_PKS3_S4_S6_S6_S8_S6_PiPS3_21rocsparse_index_base_SB_SB_b
; %bb.0:
	s_clause 0x2
	s_load_b128 s[4:7], s[0:1], 0x68
	s_load_b64 s[8:9], s[0:1], 0x10
	s_load_b64 s[2:3], s[0:1], 0x30
	s_waitcnt lgkmcnt(0)
	s_bitcmp1_b32 s7, 0
	v_dual_mov_b32 v8, s8 :: v_dual_mov_b32 v9, s9
	s_cselect_b32 s7, -1, 0
	s_delay_alu instid0(SALU_CYCLE_1)
	s_and_b32 vcc_lo, exec_lo, s7
	s_xor_b32 s7, s7, -1
	s_cbranch_vccnz .LBB8_2
; %bb.1:
	v_dual_mov_b32 v1, s8 :: v_dual_mov_b32 v2, s9
	flat_load_b64 v[8:9], v[1:2]
.LBB8_2:
	v_dual_mov_b32 v11, s3 :: v_dual_mov_b32 v10, s2
	s_and_not1_b32 vcc_lo, exec_lo, s7
	s_cbranch_vccnz .LBB8_4
; %bb.3:
	v_dual_mov_b32 v1, s2 :: v_dual_mov_b32 v2, s3
	flat_load_b64 v[10:11], v[1:2]
.LBB8_4:
	s_load_b128 s[8:11], s[0:1], 0x0
	v_lshrrev_b32_e32 v7, 5, v0
	s_lshl_b32 s2, s15, 3
	s_delay_alu instid0(VALU_DEP_1) | instid1(SALU_CYCLE_1)
	v_and_or_b32 v1, 0x7fffff8, s2, v7
	s_mov_b32 s2, exec_lo
	s_waitcnt lgkmcnt(0)
	s_delay_alu instid0(VALU_DEP_1)
	v_cmpx_gt_i32_e64 s9, v1
	s_cbranch_execz .LBB8_39
; %bb.5:
	s_clause 0x2
	s_load_b128 s[12:15], s[0:1], 0x18
	s_load_b128 s[16:19], s[0:1], 0x38
	s_load_b64 s[2:3], s[0:1], 0x50
	v_lshlrev_b32_e32 v1, 2, v1
	s_waitcnt lgkmcnt(0)
	s_clause 0x2
	global_load_b64 v[5:6], v1, s[12:13]
	global_load_b64 v[3:4], v1, s[16:17]
	global_load_b32 v12, v1, s[2:3]
	s_waitcnt vmcnt(2)
	v_subrev_nc_u32_e32 v1, s4, v5
	v_cmp_lt_i32_e32 vcc_lo, v5, v6
	v_mov_b32_e32 v5, s10
	s_and_saveexec_b32 s2, vcc_lo
	s_cbranch_execz .LBB8_7
; %bb.6:
	v_ashrrev_i32_e32 v2, 31, v1
	s_delay_alu instid0(VALU_DEP_1) | instskip(NEXT) | instid1(VALU_DEP_1)
	v_lshlrev_b64 v[13:14], 2, v[1:2]
	v_add_co_u32 v13, vcc_lo, s14, v13
	s_delay_alu instid0(VALU_DEP_2)
	v_add_co_ci_u32_e32 v14, vcc_lo, s15, v14, vcc_lo
	global_load_b32 v2, v[13:14], off
	s_waitcnt vmcnt(0)
	v_subrev_nc_u32_e32 v5, s4, v2
.LBB8_7:
	s_or_b32 exec_lo, exec_lo, s2
	s_clause 0x2
	s_load_b128 s[20:23], s[0:1], 0x58
	s_load_b64 s[2:3], s[0:1], 0x28
	s_load_b64 s[12:13], s[0:1], 0x48
	s_waitcnt vmcnt(1)
	v_subrev_nc_u32_e32 v2, s5, v3
	v_cmp_lt_i32_e32 vcc_lo, v3, v4
	v_mov_b32_e32 v3, s10
	s_and_saveexec_b32 s0, vcc_lo
	s_cbranch_execz .LBB8_9
; %bb.8:
	v_ashrrev_i32_e32 v3, 31, v2
	s_delay_alu instid0(VALU_DEP_1) | instskip(NEXT) | instid1(VALU_DEP_1)
	v_lshlrev_b64 v[13:14], 2, v[2:3]
	v_add_co_u32 v13, vcc_lo, s18, v13
	s_delay_alu instid0(VALU_DEP_2)
	v_add_co_ci_u32_e32 v14, vcc_lo, s19, v14, vcc_lo
	global_load_b32 v3, v[13:14], off
	s_waitcnt vmcnt(0)
	v_subrev_nc_u32_e32 v3, s5, v3
.LBB8_9:
	s_or_b32 exec_lo, exec_lo, s0
	s_movk_i32 s0, 0xe0
	v_subrev_nc_u32_e32 v23, s5, v4
	v_and_or_b32 v21, v0, s0, 0x2000
	v_mbcnt_lo_u32_b32 v4, -1, 0
	v_and_b32_e32 v0, 31, v0
	s_waitcnt vmcnt(0)
	v_subrev_nc_u32_e32 v24, s6, v12
	v_min_i32_e32 v28, v3, v5
	s_mov_b32 s24, 0
	v_xor_b32_e32 v3, 2, v4
	v_add_nc_u32_e32 v12, v1, v0
	v_xor_b32_e32 v1, 16, v4
	v_dual_mov_b32 v17, 0 :: v_dual_add_nc_u32 v14, v2, v0
	v_xor_b32_e32 v2, 31, v0
	v_xor_b32_e32 v5, 1, v4
	s_delay_alu instid0(VALU_DEP_4)
	v_cmp_gt_i32_e32 vcc_lo, 32, v1
	v_lshlrev_b32_e32 v20, 10, v7
	s_mov_b32 s25, s24
	v_lshrrev_b32_e64 v25, v2, -1
	v_xor_b32_e32 v2, 8, v4
	v_cndmask_b32_e32 v1, v4, v1, vcc_lo
	s_mov_b32 s26, s24
	s_mov_b32 s27, s24
	s_cmp_lg_u32 s8, 0
	v_cmp_gt_i32_e32 vcc_lo, 32, v2
	v_lshlrev_b32_e32 v27, 2, v1
	v_xor_b32_e32 v1, 4, v4
	v_subrev_nc_u32_e32 v22, s4, v6
	v_dual_mov_b32 v35, 1 :: v_dual_cndmask_b32 v2, v4, v2
	s_cselect_b32 s1, -1, 0
	s_delay_alu instid0(VALU_DEP_3) | instskip(SKIP_1) | instid1(VALU_DEP_2)
	v_cmp_gt_i32_e32 vcc_lo, 32, v1
	s_cmp_eq_u32 s8, 0
	v_lshlrev_b32_e32 v30, 2, v2
	s_cselect_b32 s7, 16, 8
	v_cndmask_b32_e32 v1, v4, v1, vcc_lo
	v_cmp_gt_i32_e32 vcc_lo, 32, v3
	v_add_nc_u32_e32 v26, s6, v0
	v_lshl_or_b32 v29, v0, 5, v20
	v_add_nc_u32_e32 v34, v21, v0
	v_lshlrev_b32_e32 v31, 2, v1
	v_cndmask_b32_e32 v3, v4, v3, vcc_lo
	v_cmp_gt_i32_e32 vcc_lo, 32, v5
	s_cselect_b32 s6, 8, 16
	s_delay_alu instid0(VALU_DEP_2) | instskip(SKIP_3) | instid1(VALU_DEP_2)
	v_lshlrev_b32_e32 v32, 2, v3
	v_mov_b32_e32 v0, s24
	v_dual_cndmask_b32 v4, v4, v5 :: v_dual_mov_b32 v3, s27
	v_dual_mov_b32 v1, s25 :: v_dual_mov_b32 v2, s26
	v_lshlrev_b32_e32 v33, 2, v4
	s_branch .LBB8_11
.LBB8_10:                               ;   in Loop: Header=BB8_11 Depth=1
	s_or_b32 exec_lo, exec_lo, s8
	ds_bpermute_b32 v4, v27, v36
	s_bcnt1_i32_b32 s8, vcc_lo
	s_delay_alu instid0(SALU_CYCLE_1)
	v_add_nc_u32_e32 v24, s8, v24
	s_waitcnt lgkmcnt(0)
	v_min_i32_e32 v4, v4, v36
	ds_bpermute_b32 v5, v30, v4
	s_waitcnt lgkmcnt(0)
	v_min_i32_e32 v4, v5, v4
	ds_bpermute_b32 v5, v31, v4
	;; [unrolled: 3-line block ×4, first 2 shown]
	s_waitcnt lgkmcnt(0)
	v_min_i32_e32 v28, v5, v4
	s_delay_alu instid0(VALU_DEP_1) | instskip(NEXT) | instid1(VALU_DEP_1)
	v_cmp_le_i32_e64 s0, s10, v28
	s_or_b32 s24, s0, s24
	s_delay_alu instid0(SALU_CYCLE_1)
	s_and_not1_b32 exec_lo, exec_lo, s24
	s_cbranch_execz .LBB8_39
.LBB8_11:                               ; =>This Loop Header: Depth=1
                                        ;     Child Loop BB8_14 Depth 2
                                        ;     Child Loop BB8_27 Depth 2
	v_mov_b32_e32 v36, s10
	s_mov_b32 s8, exec_lo
	ds_store_b8 v34, v17
	ds_store_b128 v29, v[0:3]
	ds_store_b128 v29, v[0:3] offset:16
	s_waitcnt lgkmcnt(0)
	buffer_gl0_inv
	v_cmpx_lt_i32_e64 v12, v22
	s_cbranch_execz .LBB8_24
; %bb.12:                               ;   in Loop: Header=BB8_11 Depth=1
	v_lshlrev_b32_e32 v16, 2, v12
	v_mov_b32_e32 v36, s10
	s_mov_b32 s9, 0
	s_branch .LBB8_14
.LBB8_13:                               ;   in Loop: Header=BB8_14 Depth=2
	s_or_b32 exec_lo, exec_lo, s16
	s_delay_alu instid0(SALU_CYCLE_1) | instskip(NEXT) | instid1(SALU_CYCLE_1)
	s_and_b32 s0, exec_lo, s11
	s_or_b32 s9, s0, s9
	s_delay_alu instid0(SALU_CYCLE_1)
	s_and_not1_b32 exec_lo, exec_lo, s9
	s_cbranch_execz .LBB8_23
.LBB8_14:                               ;   Parent Loop BB8_11 Depth=1
                                        ; =>  This Inner Loop Header: Depth=2
	v_ashrrev_i32_e32 v13, 31, v12
	s_mov_b32 s11, exec_lo
	s_delay_alu instid0(VALU_DEP_1) | instskip(NEXT) | instid1(VALU_DEP_1)
	v_lshlrev_b64 v[4:5], 2, v[12:13]
	v_add_co_u32 v4, vcc_lo, s14, v4
	s_delay_alu instid0(VALU_DEP_2) | instskip(SKIP_3) | instid1(VALU_DEP_1)
	v_add_co_ci_u32_e32 v5, vcc_lo, s15, v5, vcc_lo
	global_load_b32 v4, v[4:5], off
	s_waitcnt vmcnt(0)
	v_subrev_nc_u32_e32 v4, s4, v4
	v_sub_nc_u32_e32 v6, v4, v28
	s_delay_alu instid0(VALU_DEP_1)
	v_cmp_gt_u32_e64 s0, 32, v6
	v_cmpx_lt_u32_e32 31, v6
	s_xor_b32 s11, exec_lo, s11
; %bb.15:                               ;   in Loop: Header=BB8_14 Depth=2
	v_min_i32_e32 v36, v4, v36
                                        ; implicit-def: $vgpr6
; %bb.16:                               ;   in Loop: Header=BB8_14 Depth=2
	s_and_not1_saveexec_b32 s11, s11
	s_cbranch_execz .LBB8_21
; %bb.17:                               ;   in Loop: Header=BB8_14 Depth=2
	v_lshlrev_b64 v[4:5], 3, v[16:17]
	v_lshlrev_b32_e32 v7, 5, v6
	v_add_nc_u32_e32 v13, v21, v6
	s_delay_alu instid0(VALU_DEP_2) | instskip(NEXT) | instid1(VALU_DEP_4)
	v_add_nc_u32_e32 v6, v20, v7
	v_add_co_u32 v4, vcc_lo, s2, v4
	v_add_co_ci_u32_e32 v5, vcc_lo, s3, v5, vcc_lo
	s_and_not1_b32 vcc_lo, exec_lo, s1
	global_load_b64 v[18:19], v[4:5], off
	s_waitcnt vmcnt(0)
	v_mul_f64 v[18:19], v[8:9], v[18:19]
	ds_store_b8 v13, v35
	ds_store_b64 v6, v[18:19]
	s_cbranch_vccnz .LBB8_19
; %bb.18:                               ;   in Loop: Header=BB8_14 Depth=2
	s_clause 0x1
	global_load_b128 v[37:40], v[4:5], off offset:8
	global_load_b64 v[18:19], v[4:5], off offset:24
	s_waitcnt vmcnt(1)
	v_mul_f64 v[39:40], v[8:9], v[39:40]
	v_mul_f64 v[37:38], v[8:9], v[37:38]
	s_waitcnt vmcnt(0)
	v_mul_f64 v[18:19], v[8:9], v[18:19]
	ds_store_2addr_b64 v6, v[39:40], v[37:38] offset0:1 offset1:2
	ds_store_b64 v6, v[18:19] offset:24
	s_cbranch_execz .LBB8_20
	s_branch .LBB8_21
.LBB8_19:                               ;   in Loop: Header=BB8_14 Depth=2
.LBB8_20:                               ;   in Loop: Header=BB8_14 Depth=2
	s_clause 0x1
	global_load_b128 v[37:40], v[4:5], off offset:8
	global_load_b64 v[4:5], v[4:5], off offset:24
	s_waitcnt vmcnt(1)
	v_mul_f64 v[18:19], v[8:9], v[37:38]
	v_mul_f64 v[37:38], v[8:9], v[39:40]
	s_waitcnt vmcnt(0)
	v_mul_f64 v[4:5], v[8:9], v[4:5]
	ds_store_2addr_b64 v6, v[18:19], v[37:38] offset0:1 offset1:2
	ds_store_b64 v6, v[4:5] offset:24
.LBB8_21:                               ;   in Loop: Header=BB8_14 Depth=2
	s_or_b32 exec_lo, exec_lo, s11
	s_mov_b32 s11, -1
	s_and_saveexec_b32 s16, s0
	s_cbranch_execz .LBB8_13
; %bb.22:                               ;   in Loop: Header=BB8_14 Depth=2
	v_add_nc_u32_e32 v12, 32, v12
	v_add_nc_u32_e32 v16, 0x80, v16
	s_delay_alu instid0(VALU_DEP_2)
	v_cmp_ge_i32_e32 vcc_lo, v12, v22
	s_or_not1_b32 s11, vcc_lo, exec_lo
	s_branch .LBB8_13
.LBB8_23:                               ;   in Loop: Header=BB8_11 Depth=1
	s_or_b32 exec_lo, exec_lo, s9
.LBB8_24:                               ;   in Loop: Header=BB8_11 Depth=1
	s_delay_alu instid0(SALU_CYCLE_1) | instskip(NEXT) | instid1(SALU_CYCLE_1)
	s_or_b32 exec_lo, exec_lo, s8
	s_mov_b32 s8, exec_lo
	s_waitcnt lgkmcnt(0)
	buffer_gl0_inv
	v_cmpx_lt_i32_e64 v14, v23
	s_cbranch_execz .LBB8_37
; %bb.25:                               ;   in Loop: Header=BB8_11 Depth=1
	v_lshlrev_b32_e32 v16, 2, v14
	s_mov_b32 s9, 0
	s_branch .LBB8_27
.LBB8_26:                               ;   in Loop: Header=BB8_27 Depth=2
	s_or_b32 exec_lo, exec_lo, s16
	s_delay_alu instid0(SALU_CYCLE_1) | instskip(NEXT) | instid1(SALU_CYCLE_1)
	s_and_b32 s0, exec_lo, s11
	s_or_b32 s9, s0, s9
	s_delay_alu instid0(SALU_CYCLE_1)
	s_and_not1_b32 exec_lo, exec_lo, s9
	s_cbranch_execz .LBB8_36
.LBB8_27:                               ;   Parent Loop BB8_11 Depth=1
                                        ; =>  This Inner Loop Header: Depth=2
	v_ashrrev_i32_e32 v15, 31, v14
	s_mov_b32 s11, exec_lo
	s_delay_alu instid0(VALU_DEP_1) | instskip(NEXT) | instid1(VALU_DEP_1)
	v_lshlrev_b64 v[4:5], 2, v[14:15]
	v_add_co_u32 v4, vcc_lo, s18, v4
	s_delay_alu instid0(VALU_DEP_2) | instskip(SKIP_3) | instid1(VALU_DEP_1)
	v_add_co_ci_u32_e32 v5, vcc_lo, s19, v5, vcc_lo
	global_load_b32 v4, v[4:5], off
	s_waitcnt vmcnt(0)
	v_subrev_nc_u32_e32 v4, s5, v4
	v_sub_nc_u32_e32 v15, v4, v28
	s_delay_alu instid0(VALU_DEP_1)
	v_cmp_gt_u32_e64 s0, 32, v15
	v_cmpx_lt_u32_e32 31, v15
	s_xor_b32 s11, exec_lo, s11
; %bb.28:                               ;   in Loop: Header=BB8_27 Depth=2
	v_min_i32_e32 v36, v4, v36
                                        ; implicit-def: $vgpr15
; %bb.29:                               ;   in Loop: Header=BB8_27 Depth=2
	s_and_not1_saveexec_b32 s11, s11
	s_cbranch_execz .LBB8_34
; %bb.30:                               ;   in Loop: Header=BB8_27 Depth=2
	v_lshlrev_b64 v[4:5], 3, v[16:17]
	s_delay_alu instid0(VALU_DEP_1) | instskip(NEXT) | instid1(VALU_DEP_2)
	v_add_co_u32 v18, vcc_lo, s12, v4
	v_add_co_ci_u32_e32 v19, vcc_lo, s13, v5, vcc_lo
	v_lshlrev_b32_e32 v4, 5, v15
	v_add_nc_u32_e32 v15, v21, v15
	s_and_not1_b32 vcc_lo, exec_lo, s1
	global_load_b64 v[37:38], v[18:19], off
	v_add_nc_u32_e32 v13, v20, v4
	ds_load_b128 v[4:7], v13
	s_waitcnt vmcnt(0) lgkmcnt(0)
	v_fma_f64 v[4:5], v[10:11], v[37:38], v[4:5]
	ds_store_b8 v15, v35
	ds_store_b64 v13, v[4:5]
	s_cbranch_vccnz .LBB8_32
; %bb.31:                               ;   in Loop: Header=BB8_27 Depth=2
	s_clause 0x1
	global_load_b128 v[37:40], v[18:19], off offset:8
	global_load_b64 v[4:5], v[18:19], off offset:24
	ds_load_b128 v[41:44], v13 offset:16
	s_waitcnt vmcnt(1)
	v_fma_f64 v[39:40], v[10:11], v[39:40], v[6:7]
	s_waitcnt lgkmcnt(0)
	v_fma_f64 v[37:38], v[10:11], v[37:38], v[41:42]
	s_waitcnt vmcnt(0)
	v_fma_f64 v[4:5], v[10:11], v[4:5], v[43:44]
	ds_store_2addr_b64 v13, v[39:40], v[37:38] offset0:1 offset1:2
	ds_store_b64 v13, v[4:5] offset:24
	s_cbranch_execz .LBB8_33
	s_branch .LBB8_34
.LBB8_32:                               ;   in Loop: Header=BB8_27 Depth=2
.LBB8_33:                               ;   in Loop: Header=BB8_27 Depth=2
	s_clause 0x1
	global_load_b128 v[37:40], v[18:19], off offset:8
	global_load_b64 v[4:5], v[18:19], off offset:24
	ds_load_b128 v[41:44], v13 offset:16
	s_waitcnt vmcnt(1)
	v_fma_f64 v[6:7], v[10:11], v[37:38], v[6:7]
	s_waitcnt lgkmcnt(0)
	v_fma_f64 v[18:19], v[10:11], v[39:40], v[41:42]
	s_waitcnt vmcnt(0)
	v_fma_f64 v[4:5], v[10:11], v[4:5], v[43:44]
	ds_store_2addr_b64 v13, v[6:7], v[18:19] offset0:1 offset1:2
	ds_store_b64 v13, v[4:5] offset:24
.LBB8_34:                               ;   in Loop: Header=BB8_27 Depth=2
	s_or_b32 exec_lo, exec_lo, s11
	s_mov_b32 s11, -1
	s_and_saveexec_b32 s16, s0
	s_cbranch_execz .LBB8_26
; %bb.35:                               ;   in Loop: Header=BB8_27 Depth=2
	v_add_nc_u32_e32 v14, 32, v14
	v_add_nc_u32_e32 v16, 0x80, v16
	s_delay_alu instid0(VALU_DEP_2)
	v_cmp_ge_i32_e32 vcc_lo, v14, v23
	s_or_not1_b32 s11, vcc_lo, exec_lo
	s_branch .LBB8_26
.LBB8_36:                               ;   in Loop: Header=BB8_11 Depth=1
	s_or_b32 exec_lo, exec_lo, s9
.LBB8_37:                               ;   in Loop: Header=BB8_11 Depth=1
	s_delay_alu instid0(SALU_CYCLE_1)
	s_or_b32 exec_lo, exec_lo, s8
	s_waitcnt lgkmcnt(0)
	buffer_gl0_inv
	ds_load_u8 v4, v34
	s_mov_b32 s8, exec_lo
	s_waitcnt lgkmcnt(0)
	v_and_b32_e32 v5, 1, v4
	v_cmp_ne_u16_e32 vcc_lo, 0, v4
	s_delay_alu instid0(VALU_DEP_2)
	v_cmpx_eq_u32_e32 1, v5
	s_cbranch_execz .LBB8_10
; %bb.38:                               ;   in Loop: Header=BB8_11 Depth=1
	ds_load_2addr_b64 v[4:7], v29 offset1:3
	v_and_b32_e32 v13, vcc_lo, v25
	s_waitcnt lgkmcnt(0)
	v_dual_mov_b32 v38, v5 :: v_dual_add_nc_u32 v15, s7, v29
	s_delay_alu instid0(VALU_DEP_2) | instskip(NEXT) | instid1(VALU_DEP_1)
	v_bcnt_u32_b32 v13, v13, 0
	v_add3_u32 v18, v24, v13, -1
	v_add_nc_u32_e32 v13, s6, v29
	v_mov_b32_e32 v37, v4
	ds_load_b64 v[39:40], v13
	ds_load_b64 v[4:5], v15
	v_lshlrev_b32_e32 v16, 2, v18
	v_ashrrev_i32_e32 v19, 31, v18
	v_add_nc_u32_e32 v13, v26, v28
	s_delay_alu instid0(VALU_DEP_3) | instskip(NEXT) | instid1(VALU_DEP_3)
	v_lshlrev_b64 v[15:16], 3, v[16:17]
	v_lshlrev_b64 v[18:19], 2, v[18:19]
	s_delay_alu instid0(VALU_DEP_1) | instskip(NEXT) | instid1(VALU_DEP_1)
	v_add_co_u32 v18, s0, s20, v18
	v_add_co_ci_u32_e64 v19, s0, s21, v19, s0
	s_delay_alu instid0(VALU_DEP_4) | instskip(NEXT) | instid1(VALU_DEP_1)
	v_add_co_u32 v15, s0, s22, v15
	v_add_co_ci_u32_e64 v16, s0, s23, v16, s0
	global_store_b32 v[18:19], v13, off
	s_waitcnt lgkmcnt(1)
	global_store_b128 v[15:16], v[37:40], off
	s_waitcnt lgkmcnt(0)
	global_store_b128 v[15:16], v[4:7], off offset:16
	s_branch .LBB8_10
.LBB8_39:
	s_nop 0
	s_sendmsg sendmsg(MSG_DEALLOC_VGPRS)
	s_endpgm
	.section	.rodata,"a",@progbits
	.p2align	6, 0x0
	.amdhsa_kernel _ZN9rocsparseL39bsrgeam_wf_per_row_multipass_2_3_kernelILj256ELj2ELj32EdEEv20rocsparse_direction_iiiNS_24const_host_device_scalarIT2_EEPKiS6_PKS3_S4_S6_S6_S8_S6_PiPS3_21rocsparse_index_base_SB_SB_b
		.amdhsa_group_segment_fixed_size 8448
		.amdhsa_private_segment_fixed_size 0
		.amdhsa_kernarg_size 120
		.amdhsa_user_sgpr_count 15
		.amdhsa_user_sgpr_dispatch_ptr 0
		.amdhsa_user_sgpr_queue_ptr 0
		.amdhsa_user_sgpr_kernarg_segment_ptr 1
		.amdhsa_user_sgpr_dispatch_id 0
		.amdhsa_user_sgpr_private_segment_size 0
		.amdhsa_wavefront_size32 1
		.amdhsa_uses_dynamic_stack 0
		.amdhsa_enable_private_segment 0
		.amdhsa_system_sgpr_workgroup_id_x 1
		.amdhsa_system_sgpr_workgroup_id_y 0
		.amdhsa_system_sgpr_workgroup_id_z 0
		.amdhsa_system_sgpr_workgroup_info 0
		.amdhsa_system_vgpr_workitem_id 0
		.amdhsa_next_free_vgpr 45
		.amdhsa_next_free_sgpr 28
		.amdhsa_reserve_vcc 1
		.amdhsa_float_round_mode_32 0
		.amdhsa_float_round_mode_16_64 0
		.amdhsa_float_denorm_mode_32 3
		.amdhsa_float_denorm_mode_16_64 3
		.amdhsa_dx10_clamp 1
		.amdhsa_ieee_mode 1
		.amdhsa_fp16_overflow 0
		.amdhsa_workgroup_processor_mode 1
		.amdhsa_memory_ordered 1
		.amdhsa_forward_progress 0
		.amdhsa_shared_vgpr_count 0
		.amdhsa_exception_fp_ieee_invalid_op 0
		.amdhsa_exception_fp_denorm_src 0
		.amdhsa_exception_fp_ieee_div_zero 0
		.amdhsa_exception_fp_ieee_overflow 0
		.amdhsa_exception_fp_ieee_underflow 0
		.amdhsa_exception_fp_ieee_inexact 0
		.amdhsa_exception_int_div_zero 0
	.end_amdhsa_kernel
	.section	.text._ZN9rocsparseL39bsrgeam_wf_per_row_multipass_2_3_kernelILj256ELj2ELj32EdEEv20rocsparse_direction_iiiNS_24const_host_device_scalarIT2_EEPKiS6_PKS3_S4_S6_S6_S8_S6_PiPS3_21rocsparse_index_base_SB_SB_b,"axG",@progbits,_ZN9rocsparseL39bsrgeam_wf_per_row_multipass_2_3_kernelILj256ELj2ELj32EdEEv20rocsparse_direction_iiiNS_24const_host_device_scalarIT2_EEPKiS6_PKS3_S4_S6_S6_S8_S6_PiPS3_21rocsparse_index_base_SB_SB_b,comdat
.Lfunc_end8:
	.size	_ZN9rocsparseL39bsrgeam_wf_per_row_multipass_2_3_kernelILj256ELj2ELj32EdEEv20rocsparse_direction_iiiNS_24const_host_device_scalarIT2_EEPKiS6_PKS3_S4_S6_S6_S8_S6_PiPS3_21rocsparse_index_base_SB_SB_b, .Lfunc_end8-_ZN9rocsparseL39bsrgeam_wf_per_row_multipass_2_3_kernelILj256ELj2ELj32EdEEv20rocsparse_direction_iiiNS_24const_host_device_scalarIT2_EEPKiS6_PKS3_S4_S6_S6_S8_S6_PiPS3_21rocsparse_index_base_SB_SB_b
                                        ; -- End function
	.section	.AMDGPU.csdata,"",@progbits
; Kernel info:
; codeLenInByte = 1952
; NumSgprs: 30
; NumVgprs: 45
; ScratchSize: 0
; MemoryBound: 0
; FloatMode: 240
; IeeeMode: 1
; LDSByteSize: 8448 bytes/workgroup (compile time only)
; SGPRBlocks: 3
; VGPRBlocks: 5
; NumSGPRsForWavesPerEU: 30
; NumVGPRsForWavesPerEU: 45
; Occupancy: 16
; WaveLimiterHint : 1
; COMPUTE_PGM_RSRC2:SCRATCH_EN: 0
; COMPUTE_PGM_RSRC2:USER_SGPR: 15
; COMPUTE_PGM_RSRC2:TRAP_HANDLER: 0
; COMPUTE_PGM_RSRC2:TGID_X_EN: 1
; COMPUTE_PGM_RSRC2:TGID_Y_EN: 0
; COMPUTE_PGM_RSRC2:TGID_Z_EN: 0
; COMPUTE_PGM_RSRC2:TIDIG_COMP_CNT: 0
	.section	.text._ZN9rocsparseL39bsrgeam_wf_per_row_multipass_2_3_kernelILj256ELj2ELj64EdEEv20rocsparse_direction_iiiNS_24const_host_device_scalarIT2_EEPKiS6_PKS3_S4_S6_S6_S8_S6_PiPS3_21rocsparse_index_base_SB_SB_b,"axG",@progbits,_ZN9rocsparseL39bsrgeam_wf_per_row_multipass_2_3_kernelILj256ELj2ELj64EdEEv20rocsparse_direction_iiiNS_24const_host_device_scalarIT2_EEPKiS6_PKS3_S4_S6_S6_S8_S6_PiPS3_21rocsparse_index_base_SB_SB_b,comdat
	.globl	_ZN9rocsparseL39bsrgeam_wf_per_row_multipass_2_3_kernelILj256ELj2ELj64EdEEv20rocsparse_direction_iiiNS_24const_host_device_scalarIT2_EEPKiS6_PKS3_S4_S6_S6_S8_S6_PiPS3_21rocsparse_index_base_SB_SB_b ; -- Begin function _ZN9rocsparseL39bsrgeam_wf_per_row_multipass_2_3_kernelILj256ELj2ELj64EdEEv20rocsparse_direction_iiiNS_24const_host_device_scalarIT2_EEPKiS6_PKS3_S4_S6_S6_S8_S6_PiPS3_21rocsparse_index_base_SB_SB_b
	.p2align	8
	.type	_ZN9rocsparseL39bsrgeam_wf_per_row_multipass_2_3_kernelILj256ELj2ELj64EdEEv20rocsparse_direction_iiiNS_24const_host_device_scalarIT2_EEPKiS6_PKS3_S4_S6_S6_S8_S6_PiPS3_21rocsparse_index_base_SB_SB_b,@function
_ZN9rocsparseL39bsrgeam_wf_per_row_multipass_2_3_kernelILj256ELj2ELj64EdEEv20rocsparse_direction_iiiNS_24const_host_device_scalarIT2_EEPKiS6_PKS3_S4_S6_S6_S8_S6_PiPS3_21rocsparse_index_base_SB_SB_b: ; @_ZN9rocsparseL39bsrgeam_wf_per_row_multipass_2_3_kernelILj256ELj2ELj64EdEEv20rocsparse_direction_iiiNS_24const_host_device_scalarIT2_EEPKiS6_PKS3_S4_S6_S6_S8_S6_PiPS3_21rocsparse_index_base_SB_SB_b
; %bb.0:
	s_clause 0x2
	s_load_b128 s[4:7], s[0:1], 0x68
	s_load_b64 s[8:9], s[0:1], 0x10
	s_load_b64 s[2:3], s[0:1], 0x30
	s_waitcnt lgkmcnt(0)
	s_bitcmp1_b32 s7, 0
	v_dual_mov_b32 v8, s8 :: v_dual_mov_b32 v9, s9
	s_cselect_b32 s7, -1, 0
	s_delay_alu instid0(SALU_CYCLE_1)
	s_and_b32 vcc_lo, exec_lo, s7
	s_xor_b32 s7, s7, -1
	s_cbranch_vccnz .LBB9_2
; %bb.1:
	v_dual_mov_b32 v1, s8 :: v_dual_mov_b32 v2, s9
	flat_load_b64 v[8:9], v[1:2]
.LBB9_2:
	v_dual_mov_b32 v11, s3 :: v_dual_mov_b32 v10, s2
	s_and_not1_b32 vcc_lo, exec_lo, s7
	s_cbranch_vccnz .LBB9_4
; %bb.3:
	v_dual_mov_b32 v1, s2 :: v_dual_mov_b32 v2, s3
	flat_load_b64 v[10:11], v[1:2]
.LBB9_4:
	s_load_b128 s[8:11], s[0:1], 0x0
	v_lshrrev_b32_e32 v7, 6, v0
	s_lshl_b32 s2, s15, 2
	s_delay_alu instid0(VALU_DEP_1) | instid1(SALU_CYCLE_1)
	v_and_or_b32 v1, 0x3fffffc, s2, v7
	s_mov_b32 s2, exec_lo
	s_waitcnt lgkmcnt(0)
	s_delay_alu instid0(VALU_DEP_1)
	v_cmpx_gt_i32_e64 s9, v1
	s_cbranch_execz .LBB9_39
; %bb.5:
	s_clause 0x2
	s_load_b128 s[12:15], s[0:1], 0x18
	s_load_b128 s[16:19], s[0:1], 0x38
	s_load_b64 s[2:3], s[0:1], 0x50
	v_lshlrev_b32_e32 v1, 2, v1
	s_waitcnt lgkmcnt(0)
	s_clause 0x2
	global_load_b64 v[5:6], v1, s[12:13]
	global_load_b64 v[3:4], v1, s[16:17]
	global_load_b32 v12, v1, s[2:3]
	s_waitcnt vmcnt(2)
	v_subrev_nc_u32_e32 v1, s4, v5
	v_cmp_lt_i32_e32 vcc_lo, v5, v6
	v_mov_b32_e32 v5, s10
	s_and_saveexec_b32 s2, vcc_lo
	s_cbranch_execz .LBB9_7
; %bb.6:
	v_ashrrev_i32_e32 v2, 31, v1
	s_delay_alu instid0(VALU_DEP_1) | instskip(NEXT) | instid1(VALU_DEP_1)
	v_lshlrev_b64 v[13:14], 2, v[1:2]
	v_add_co_u32 v13, vcc_lo, s14, v13
	s_delay_alu instid0(VALU_DEP_2)
	v_add_co_ci_u32_e32 v14, vcc_lo, s15, v14, vcc_lo
	global_load_b32 v2, v[13:14], off
	s_waitcnt vmcnt(0)
	v_subrev_nc_u32_e32 v5, s4, v2
.LBB9_7:
	s_or_b32 exec_lo, exec_lo, s2
	s_clause 0x2
	s_load_b128 s[20:23], s[0:1], 0x58
	s_load_b64 s[2:3], s[0:1], 0x28
	s_load_b64 s[12:13], s[0:1], 0x48
	s_waitcnt vmcnt(1)
	v_subrev_nc_u32_e32 v2, s5, v3
	v_cmp_lt_i32_e32 vcc_lo, v3, v4
	v_mov_b32_e32 v3, s10
	s_and_saveexec_b32 s0, vcc_lo
	s_cbranch_execz .LBB9_9
; %bb.8:
	v_ashrrev_i32_e32 v3, 31, v2
	s_delay_alu instid0(VALU_DEP_1) | instskip(NEXT) | instid1(VALU_DEP_1)
	v_lshlrev_b64 v[13:14], 2, v[2:3]
	v_add_co_u32 v13, vcc_lo, s18, v13
	s_delay_alu instid0(VALU_DEP_2)
	v_add_co_ci_u32_e32 v14, vcc_lo, s19, v14, vcc_lo
	global_load_b32 v3, v[13:14], off
	s_waitcnt vmcnt(0)
	v_subrev_nc_u32_e32 v3, s5, v3
.LBB9_9:
	s_or_b32 exec_lo, exec_lo, s0
	s_movk_i32 s0, 0xc0
	v_subrev_nc_u32_e32 v24, s5, v4
	v_and_or_b32 v22, v0, s0, 0x2000
	v_mbcnt_lo_u32_b32 v4, -1, 0
	v_and_b32_e32 v0, 63, v0
	s_waitcnt vmcnt(0)
	v_subrev_nc_u32_e32 v25, s6, v12
	v_min_i32_e32 v29, v3, v5
	v_subrev_nc_u32_e32 v23, s4, v6
	v_xor_b32_e32 v3, 4, v4
	v_add_nc_u32_e32 v12, v1, v0
	v_or_b32_e32 v1, 32, v4
	v_xor_b32_e32 v6, 1, v4
	v_xor_b32_e32 v5, 2, v4
	s_mov_b32 s24, 0
	s_cmp_lg_u32 s8, 0
	v_cmp_gt_i32_e32 vcc_lo, 32, v1
	s_mov_b32 s25, s24
	s_mov_b32 s26, s24
	;; [unrolled: 1-line block ×3, first 2 shown]
	v_dual_mov_b32 v36, 1 :: v_dual_cndmask_b32 v1, v4, v1
	v_add_nc_u32_e32 v14, v2, v0
	v_xor_b32_e32 v2, 63, v0
	v_add_nc_u32_e32 v35, v22, v0
	s_cselect_b32 s1, -1, 0
	v_lshlrev_b32_e32 v27, 2, v1
	v_xor_b32_e32 v1, 8, v4
	v_lshrrev_b64 v[16:17], v2, -1
	v_xor_b32_e32 v2, 16, v4
	s_cmp_eq_u32 s8, 0
	v_mov_b32_e32 v18, 0
	s_cselect_b32 s7, 16, 8
	s_delay_alu instid0(VALU_DEP_2) | instskip(SKIP_2) | instid1(VALU_DEP_2)
	v_cmp_gt_i32_e32 vcc_lo, 32, v2
	v_dual_cndmask_b32 v2, v4, v2 :: v_dual_lshlrev_b32 v21, 11, v7
	v_cmp_gt_i32_e32 vcc_lo, 32, v1
	v_lshl_or_b32 v28, v0, 5, v21
	s_delay_alu instid0(VALU_DEP_3) | instskip(SKIP_1) | instid1(VALU_DEP_2)
	v_dual_cndmask_b32 v1, v4, v1 :: v_dual_lshlrev_b32 v30, 2, v2
	v_cmp_gt_i32_e32 vcc_lo, 32, v3
	v_lshlrev_b32_e32 v31, 2, v1
	v_cndmask_b32_e32 v3, v4, v3, vcc_lo
	v_cmp_gt_i32_e32 vcc_lo, 32, v5
	v_add_nc_u32_e32 v26, s6, v0
	s_cselect_b32 s6, 8, 16
	s_delay_alu instid0(VALU_DEP_3) | instskip(SKIP_3) | instid1(VALU_DEP_4)
	v_dual_cndmask_b32 v5, v4, v5 :: v_dual_lshlrev_b32 v32, 2, v3
	v_cmp_gt_i32_e32 vcc_lo, 32, v6
	v_dual_mov_b32 v0, s24 :: v_dual_mov_b32 v3, s27
	v_mov_b32_e32 v1, s25
	v_dual_cndmask_b32 v4, v4, v6 :: v_dual_lshlrev_b32 v33, 2, v5
	v_mov_b32_e32 v2, s26
	s_delay_alu instid0(VALU_DEP_2)
	v_lshlrev_b32_e32 v34, 2, v4
	s_branch .LBB9_11
.LBB9_10:                               ;   in Loop: Header=BB9_11 Depth=1
	s_or_b32 exec_lo, exec_lo, s8
	ds_bpermute_b32 v4, v27, v37
	s_bcnt1_i32_b32 s8, vcc_lo
	s_delay_alu instid0(SALU_CYCLE_1)
	v_add_nc_u32_e32 v25, s8, v25
	s_waitcnt lgkmcnt(0)
	v_min_i32_e32 v4, v4, v37
	ds_bpermute_b32 v5, v30, v4
	s_waitcnt lgkmcnt(0)
	v_min_i32_e32 v4, v5, v4
	ds_bpermute_b32 v5, v31, v4
	;; [unrolled: 3-line block ×5, first 2 shown]
	s_waitcnt lgkmcnt(0)
	v_min_i32_e32 v29, v5, v4
	s_delay_alu instid0(VALU_DEP_1) | instskip(NEXT) | instid1(VALU_DEP_1)
	v_cmp_le_i32_e64 s0, s10, v29
	s_or_b32 s24, s0, s24
	s_delay_alu instid0(SALU_CYCLE_1)
	s_and_not1_b32 exec_lo, exec_lo, s24
	s_cbranch_execz .LBB9_39
.LBB9_11:                               ; =>This Loop Header: Depth=1
                                        ;     Child Loop BB9_14 Depth 2
                                        ;     Child Loop BB9_27 Depth 2
	v_mov_b32_e32 v37, s10
	s_mov_b32 s8, exec_lo
	ds_store_b8 v35, v18
	ds_store_b128 v28, v[0:3]
	ds_store_b128 v28, v[0:3] offset:16
	s_waitcnt lgkmcnt(0)
	buffer_gl0_inv
	v_cmpx_lt_i32_e64 v12, v23
	s_cbranch_execz .LBB9_24
; %bb.12:                               ;   in Loop: Header=BB9_11 Depth=1
	v_lshlrev_b32_e32 v17, 2, v12
	v_mov_b32_e32 v37, s10
	s_mov_b32 s9, 0
	s_branch .LBB9_14
.LBB9_13:                               ;   in Loop: Header=BB9_14 Depth=2
	s_or_b32 exec_lo, exec_lo, s16
	s_delay_alu instid0(SALU_CYCLE_1) | instskip(NEXT) | instid1(SALU_CYCLE_1)
	s_and_b32 s0, exec_lo, s11
	s_or_b32 s9, s0, s9
	s_delay_alu instid0(SALU_CYCLE_1)
	s_and_not1_b32 exec_lo, exec_lo, s9
	s_cbranch_execz .LBB9_23
.LBB9_14:                               ;   Parent Loop BB9_11 Depth=1
                                        ; =>  This Inner Loop Header: Depth=2
	v_ashrrev_i32_e32 v13, 31, v12
	s_mov_b32 s11, exec_lo
	s_delay_alu instid0(VALU_DEP_1) | instskip(NEXT) | instid1(VALU_DEP_1)
	v_lshlrev_b64 v[4:5], 2, v[12:13]
	v_add_co_u32 v4, vcc_lo, s14, v4
	s_delay_alu instid0(VALU_DEP_2) | instskip(SKIP_3) | instid1(VALU_DEP_1)
	v_add_co_ci_u32_e32 v5, vcc_lo, s15, v5, vcc_lo
	global_load_b32 v4, v[4:5], off
	s_waitcnt vmcnt(0)
	v_subrev_nc_u32_e32 v4, s4, v4
	v_sub_nc_u32_e32 v6, v4, v29
	s_delay_alu instid0(VALU_DEP_1)
	v_cmp_gt_u32_e64 s0, 64, v6
	v_cmpx_lt_u32_e32 63, v6
	s_xor_b32 s11, exec_lo, s11
; %bb.15:                               ;   in Loop: Header=BB9_14 Depth=2
	v_min_i32_e32 v37, v4, v37
                                        ; implicit-def: $vgpr6
; %bb.16:                               ;   in Loop: Header=BB9_14 Depth=2
	s_and_not1_saveexec_b32 s11, s11
	s_cbranch_execz .LBB9_21
; %bb.17:                               ;   in Loop: Header=BB9_14 Depth=2
	v_lshlrev_b64 v[4:5], 3, v[17:18]
	v_lshlrev_b32_e32 v7, 5, v6
	v_add_nc_u32_e32 v13, v22, v6
	s_delay_alu instid0(VALU_DEP_2) | instskip(NEXT) | instid1(VALU_DEP_4)
	v_add_nc_u32_e32 v6, v21, v7
	v_add_co_u32 v4, vcc_lo, s2, v4
	v_add_co_ci_u32_e32 v5, vcc_lo, s3, v5, vcc_lo
	s_and_not1_b32 vcc_lo, exec_lo, s1
	global_load_b64 v[19:20], v[4:5], off
	s_waitcnt vmcnt(0)
	v_mul_f64 v[19:20], v[8:9], v[19:20]
	ds_store_b8 v13, v36
	ds_store_b64 v6, v[19:20]
	s_cbranch_vccnz .LBB9_19
; %bb.18:                               ;   in Loop: Header=BB9_14 Depth=2
	s_clause 0x1
	global_load_b128 v[38:41], v[4:5], off offset:8
	global_load_b64 v[19:20], v[4:5], off offset:24
	s_waitcnt vmcnt(1)
	v_mul_f64 v[40:41], v[8:9], v[40:41]
	v_mul_f64 v[38:39], v[8:9], v[38:39]
	s_waitcnt vmcnt(0)
	v_mul_f64 v[19:20], v[8:9], v[19:20]
	ds_store_2addr_b64 v6, v[40:41], v[38:39] offset0:1 offset1:2
	ds_store_b64 v6, v[19:20] offset:24
	s_cbranch_execz .LBB9_20
	s_branch .LBB9_21
.LBB9_19:                               ;   in Loop: Header=BB9_14 Depth=2
.LBB9_20:                               ;   in Loop: Header=BB9_14 Depth=2
	s_clause 0x1
	global_load_b128 v[38:41], v[4:5], off offset:8
	global_load_b64 v[4:5], v[4:5], off offset:24
	s_waitcnt vmcnt(1)
	v_mul_f64 v[19:20], v[8:9], v[38:39]
	v_mul_f64 v[38:39], v[8:9], v[40:41]
	s_waitcnt vmcnt(0)
	v_mul_f64 v[4:5], v[8:9], v[4:5]
	ds_store_2addr_b64 v6, v[19:20], v[38:39] offset0:1 offset1:2
	ds_store_b64 v6, v[4:5] offset:24
.LBB9_21:                               ;   in Loop: Header=BB9_14 Depth=2
	s_or_b32 exec_lo, exec_lo, s11
	s_mov_b32 s11, -1
	s_and_saveexec_b32 s16, s0
	s_cbranch_execz .LBB9_13
; %bb.22:                               ;   in Loop: Header=BB9_14 Depth=2
	v_add_nc_u32_e32 v12, 64, v12
	v_add_nc_u32_e32 v17, 0x100, v17
	s_delay_alu instid0(VALU_DEP_2)
	v_cmp_ge_i32_e32 vcc_lo, v12, v23
	s_or_not1_b32 s11, vcc_lo, exec_lo
	s_branch .LBB9_13
.LBB9_23:                               ;   in Loop: Header=BB9_11 Depth=1
	s_or_b32 exec_lo, exec_lo, s9
.LBB9_24:                               ;   in Loop: Header=BB9_11 Depth=1
	s_delay_alu instid0(SALU_CYCLE_1) | instskip(NEXT) | instid1(SALU_CYCLE_1)
	s_or_b32 exec_lo, exec_lo, s8
	s_mov_b32 s8, exec_lo
	s_waitcnt lgkmcnt(0)
	buffer_gl0_inv
	v_cmpx_lt_i32_e64 v14, v24
	s_cbranch_execz .LBB9_37
; %bb.25:                               ;   in Loop: Header=BB9_11 Depth=1
	v_lshlrev_b32_e32 v17, 2, v14
	s_mov_b32 s9, 0
	s_branch .LBB9_27
.LBB9_26:                               ;   in Loop: Header=BB9_27 Depth=2
	s_or_b32 exec_lo, exec_lo, s16
	s_delay_alu instid0(SALU_CYCLE_1) | instskip(NEXT) | instid1(SALU_CYCLE_1)
	s_and_b32 s0, exec_lo, s11
	s_or_b32 s9, s0, s9
	s_delay_alu instid0(SALU_CYCLE_1)
	s_and_not1_b32 exec_lo, exec_lo, s9
	s_cbranch_execz .LBB9_36
.LBB9_27:                               ;   Parent Loop BB9_11 Depth=1
                                        ; =>  This Inner Loop Header: Depth=2
	v_ashrrev_i32_e32 v15, 31, v14
	s_mov_b32 s11, exec_lo
	s_delay_alu instid0(VALU_DEP_1) | instskip(NEXT) | instid1(VALU_DEP_1)
	v_lshlrev_b64 v[4:5], 2, v[14:15]
	v_add_co_u32 v4, vcc_lo, s18, v4
	s_delay_alu instid0(VALU_DEP_2) | instskip(SKIP_3) | instid1(VALU_DEP_1)
	v_add_co_ci_u32_e32 v5, vcc_lo, s19, v5, vcc_lo
	global_load_b32 v4, v[4:5], off
	s_waitcnt vmcnt(0)
	v_subrev_nc_u32_e32 v4, s5, v4
	v_sub_nc_u32_e32 v15, v4, v29
	s_delay_alu instid0(VALU_DEP_1)
	v_cmp_gt_u32_e64 s0, 64, v15
	v_cmpx_lt_u32_e32 63, v15
	s_xor_b32 s11, exec_lo, s11
; %bb.28:                               ;   in Loop: Header=BB9_27 Depth=2
	v_min_i32_e32 v37, v4, v37
                                        ; implicit-def: $vgpr15
; %bb.29:                               ;   in Loop: Header=BB9_27 Depth=2
	s_and_not1_saveexec_b32 s11, s11
	s_cbranch_execz .LBB9_34
; %bb.30:                               ;   in Loop: Header=BB9_27 Depth=2
	v_lshlrev_b64 v[4:5], 3, v[17:18]
	s_delay_alu instid0(VALU_DEP_1) | instskip(NEXT) | instid1(VALU_DEP_2)
	v_add_co_u32 v19, vcc_lo, s12, v4
	v_add_co_ci_u32_e32 v20, vcc_lo, s13, v5, vcc_lo
	v_lshlrev_b32_e32 v4, 5, v15
	v_add_nc_u32_e32 v15, v22, v15
	s_and_not1_b32 vcc_lo, exec_lo, s1
	global_load_b64 v[38:39], v[19:20], off
	v_add_nc_u32_e32 v13, v21, v4
	ds_load_b128 v[4:7], v13
	s_waitcnt vmcnt(0) lgkmcnt(0)
	v_fma_f64 v[4:5], v[10:11], v[38:39], v[4:5]
	ds_store_b8 v15, v36
	ds_store_b64 v13, v[4:5]
	s_cbranch_vccnz .LBB9_32
; %bb.31:                               ;   in Loop: Header=BB9_27 Depth=2
	s_clause 0x1
	global_load_b128 v[38:41], v[19:20], off offset:8
	global_load_b64 v[4:5], v[19:20], off offset:24
	ds_load_b128 v[42:45], v13 offset:16
	s_waitcnt vmcnt(1)
	v_fma_f64 v[40:41], v[10:11], v[40:41], v[6:7]
	s_waitcnt lgkmcnt(0)
	v_fma_f64 v[38:39], v[10:11], v[38:39], v[42:43]
	s_waitcnt vmcnt(0)
	v_fma_f64 v[4:5], v[10:11], v[4:5], v[44:45]
	ds_store_2addr_b64 v13, v[40:41], v[38:39] offset0:1 offset1:2
	ds_store_b64 v13, v[4:5] offset:24
	s_cbranch_execz .LBB9_33
	s_branch .LBB9_34
.LBB9_32:                               ;   in Loop: Header=BB9_27 Depth=2
.LBB9_33:                               ;   in Loop: Header=BB9_27 Depth=2
	s_clause 0x1
	global_load_b128 v[38:41], v[19:20], off offset:8
	global_load_b64 v[4:5], v[19:20], off offset:24
	ds_load_b128 v[42:45], v13 offset:16
	s_waitcnt vmcnt(1)
	v_fma_f64 v[6:7], v[10:11], v[38:39], v[6:7]
	s_waitcnt lgkmcnt(0)
	v_fma_f64 v[19:20], v[10:11], v[40:41], v[42:43]
	s_waitcnt vmcnt(0)
	v_fma_f64 v[4:5], v[10:11], v[4:5], v[44:45]
	ds_store_2addr_b64 v13, v[6:7], v[19:20] offset0:1 offset1:2
	ds_store_b64 v13, v[4:5] offset:24
.LBB9_34:                               ;   in Loop: Header=BB9_27 Depth=2
	s_or_b32 exec_lo, exec_lo, s11
	s_mov_b32 s11, -1
	s_and_saveexec_b32 s16, s0
	s_cbranch_execz .LBB9_26
; %bb.35:                               ;   in Loop: Header=BB9_27 Depth=2
	v_add_nc_u32_e32 v14, 64, v14
	v_add_nc_u32_e32 v17, 0x100, v17
	s_delay_alu instid0(VALU_DEP_2)
	v_cmp_ge_i32_e32 vcc_lo, v14, v24
	s_or_not1_b32 s11, vcc_lo, exec_lo
	s_branch .LBB9_26
.LBB9_36:                               ;   in Loop: Header=BB9_11 Depth=1
	s_or_b32 exec_lo, exec_lo, s9
.LBB9_37:                               ;   in Loop: Header=BB9_11 Depth=1
	s_delay_alu instid0(SALU_CYCLE_1)
	s_or_b32 exec_lo, exec_lo, s8
	s_waitcnt lgkmcnt(0)
	buffer_gl0_inv
	ds_load_u8 v4, v35
	s_mov_b32 s8, exec_lo
	s_waitcnt lgkmcnt(0)
	v_and_b32_e32 v5, 1, v4
	v_cmp_ne_u16_e32 vcc_lo, 0, v4
	s_delay_alu instid0(VALU_DEP_2)
	v_cmpx_eq_u32_e32 1, v5
	s_cbranch_execz .LBB9_10
; %bb.38:                               ;   in Loop: Header=BB9_11 Depth=1
	ds_load_2addr_b64 v[4:7], v28 offset1:3
	v_and_b32_e32 v13, vcc_lo, v16
	s_waitcnt lgkmcnt(0)
	v_dual_mov_b32 v38, v4 :: v_dual_add_nc_u32 v15, s7, v28
	s_delay_alu instid0(VALU_DEP_2) | instskip(SKIP_1) | instid1(VALU_DEP_2)
	v_bcnt_u32_b32 v13, v13, 0
	v_mov_b32_e32 v39, v5
	v_add3_u32 v19, v25, v13, -1
	v_add_nc_u32_e32 v13, s6, v28
	ds_load_b64 v[40:41], v13
	ds_load_b64 v[4:5], v15
	v_ashrrev_i32_e32 v20, 31, v19
	v_lshlrev_b32_e32 v17, 2, v19
	v_add_nc_u32_e32 v13, v26, v29
	s_delay_alu instid0(VALU_DEP_3) | instskip(NEXT) | instid1(VALU_DEP_3)
	v_lshlrev_b64 v[19:20], 2, v[19:20]
	v_lshlrev_b64 v[42:43], 3, v[17:18]
	s_delay_alu instid0(VALU_DEP_2) | instskip(NEXT) | instid1(VALU_DEP_1)
	v_add_co_u32 v19, s0, s20, v19
	v_add_co_ci_u32_e64 v20, s0, s21, v20, s0
	s_delay_alu instid0(VALU_DEP_3) | instskip(NEXT) | instid1(VALU_DEP_1)
	v_add_co_u32 v42, s0, s22, v42
	v_add_co_ci_u32_e64 v43, s0, s23, v43, s0
	global_store_b32 v[19:20], v13, off
	s_waitcnt lgkmcnt(1)
	global_store_b128 v[42:43], v[38:41], off
	s_waitcnt lgkmcnt(0)
	global_store_b128 v[42:43], v[4:7], off offset:16
	s_branch .LBB9_10
.LBB9_39:
	s_nop 0
	s_sendmsg sendmsg(MSG_DEALLOC_VGPRS)
	s_endpgm
	.section	.rodata,"a",@progbits
	.p2align	6, 0x0
	.amdhsa_kernel _ZN9rocsparseL39bsrgeam_wf_per_row_multipass_2_3_kernelILj256ELj2ELj64EdEEv20rocsparse_direction_iiiNS_24const_host_device_scalarIT2_EEPKiS6_PKS3_S4_S6_S6_S8_S6_PiPS3_21rocsparse_index_base_SB_SB_b
		.amdhsa_group_segment_fixed_size 8448
		.amdhsa_private_segment_fixed_size 0
		.amdhsa_kernarg_size 120
		.amdhsa_user_sgpr_count 15
		.amdhsa_user_sgpr_dispatch_ptr 0
		.amdhsa_user_sgpr_queue_ptr 0
		.amdhsa_user_sgpr_kernarg_segment_ptr 1
		.amdhsa_user_sgpr_dispatch_id 0
		.amdhsa_user_sgpr_private_segment_size 0
		.amdhsa_wavefront_size32 1
		.amdhsa_uses_dynamic_stack 0
		.amdhsa_enable_private_segment 0
		.amdhsa_system_sgpr_workgroup_id_x 1
		.amdhsa_system_sgpr_workgroup_id_y 0
		.amdhsa_system_sgpr_workgroup_id_z 0
		.amdhsa_system_sgpr_workgroup_info 0
		.amdhsa_system_vgpr_workitem_id 0
		.amdhsa_next_free_vgpr 46
		.amdhsa_next_free_sgpr 28
		.amdhsa_reserve_vcc 1
		.amdhsa_float_round_mode_32 0
		.amdhsa_float_round_mode_16_64 0
		.amdhsa_float_denorm_mode_32 3
		.amdhsa_float_denorm_mode_16_64 3
		.amdhsa_dx10_clamp 1
		.amdhsa_ieee_mode 1
		.amdhsa_fp16_overflow 0
		.amdhsa_workgroup_processor_mode 1
		.amdhsa_memory_ordered 1
		.amdhsa_forward_progress 0
		.amdhsa_shared_vgpr_count 0
		.amdhsa_exception_fp_ieee_invalid_op 0
		.amdhsa_exception_fp_denorm_src 0
		.amdhsa_exception_fp_ieee_div_zero 0
		.amdhsa_exception_fp_ieee_overflow 0
		.amdhsa_exception_fp_ieee_underflow 0
		.amdhsa_exception_fp_ieee_inexact 0
		.amdhsa_exception_int_div_zero 0
	.end_amdhsa_kernel
	.section	.text._ZN9rocsparseL39bsrgeam_wf_per_row_multipass_2_3_kernelILj256ELj2ELj64EdEEv20rocsparse_direction_iiiNS_24const_host_device_scalarIT2_EEPKiS6_PKS3_S4_S6_S6_S8_S6_PiPS3_21rocsparse_index_base_SB_SB_b,"axG",@progbits,_ZN9rocsparseL39bsrgeam_wf_per_row_multipass_2_3_kernelILj256ELj2ELj64EdEEv20rocsparse_direction_iiiNS_24const_host_device_scalarIT2_EEPKiS6_PKS3_S4_S6_S6_S8_S6_PiPS3_21rocsparse_index_base_SB_SB_b,comdat
.Lfunc_end9:
	.size	_ZN9rocsparseL39bsrgeam_wf_per_row_multipass_2_3_kernelILj256ELj2ELj64EdEEv20rocsparse_direction_iiiNS_24const_host_device_scalarIT2_EEPKiS6_PKS3_S4_S6_S6_S8_S6_PiPS3_21rocsparse_index_base_SB_SB_b, .Lfunc_end9-_ZN9rocsparseL39bsrgeam_wf_per_row_multipass_2_3_kernelILj256ELj2ELj64EdEEv20rocsparse_direction_iiiNS_24const_host_device_scalarIT2_EEPKiS6_PKS3_S4_S6_S6_S8_S6_PiPS3_21rocsparse_index_base_SB_SB_b
                                        ; -- End function
	.section	.AMDGPU.csdata,"",@progbits
; Kernel info:
; codeLenInByte = 1988
; NumSgprs: 30
; NumVgprs: 46
; ScratchSize: 0
; MemoryBound: 0
; FloatMode: 240
; IeeeMode: 1
; LDSByteSize: 8448 bytes/workgroup (compile time only)
; SGPRBlocks: 3
; VGPRBlocks: 5
; NumSGPRsForWavesPerEU: 30
; NumVGPRsForWavesPerEU: 46
; Occupancy: 16
; WaveLimiterHint : 1
; COMPUTE_PGM_RSRC2:SCRATCH_EN: 0
; COMPUTE_PGM_RSRC2:USER_SGPR: 15
; COMPUTE_PGM_RSRC2:TRAP_HANDLER: 0
; COMPUTE_PGM_RSRC2:TGID_X_EN: 1
; COMPUTE_PGM_RSRC2:TGID_Y_EN: 0
; COMPUTE_PGM_RSRC2:TGID_Z_EN: 0
; COMPUTE_PGM_RSRC2:TIDIG_COMP_CNT: 0
	.section	.text._ZN9rocsparseL39bsrgeam_wf_per_row_multipass_2_3_kernelILj256ELj3ELj32EdEEv20rocsparse_direction_iiiNS_24const_host_device_scalarIT2_EEPKiS6_PKS3_S4_S6_S6_S8_S6_PiPS3_21rocsparse_index_base_SB_SB_b,"axG",@progbits,_ZN9rocsparseL39bsrgeam_wf_per_row_multipass_2_3_kernelILj256ELj3ELj32EdEEv20rocsparse_direction_iiiNS_24const_host_device_scalarIT2_EEPKiS6_PKS3_S4_S6_S6_S8_S6_PiPS3_21rocsparse_index_base_SB_SB_b,comdat
	.globl	_ZN9rocsparseL39bsrgeam_wf_per_row_multipass_2_3_kernelILj256ELj3ELj32EdEEv20rocsparse_direction_iiiNS_24const_host_device_scalarIT2_EEPKiS6_PKS3_S4_S6_S6_S8_S6_PiPS3_21rocsparse_index_base_SB_SB_b ; -- Begin function _ZN9rocsparseL39bsrgeam_wf_per_row_multipass_2_3_kernelILj256ELj3ELj32EdEEv20rocsparse_direction_iiiNS_24const_host_device_scalarIT2_EEPKiS6_PKS3_S4_S6_S6_S8_S6_PiPS3_21rocsparse_index_base_SB_SB_b
	.p2align	8
	.type	_ZN9rocsparseL39bsrgeam_wf_per_row_multipass_2_3_kernelILj256ELj3ELj32EdEEv20rocsparse_direction_iiiNS_24const_host_device_scalarIT2_EEPKiS6_PKS3_S4_S6_S6_S8_S6_PiPS3_21rocsparse_index_base_SB_SB_b,@function
_ZN9rocsparseL39bsrgeam_wf_per_row_multipass_2_3_kernelILj256ELj3ELj32EdEEv20rocsparse_direction_iiiNS_24const_host_device_scalarIT2_EEPKiS6_PKS3_S4_S6_S6_S8_S6_PiPS3_21rocsparse_index_base_SB_SB_b: ; @_ZN9rocsparseL39bsrgeam_wf_per_row_multipass_2_3_kernelILj256ELj3ELj32EdEEv20rocsparse_direction_iiiNS_24const_host_device_scalarIT2_EEPKiS6_PKS3_S4_S6_S6_S8_S6_PiPS3_21rocsparse_index_base_SB_SB_b
; %bb.0:
	s_clause 0x2
	s_load_b128 s[4:7], s[0:1], 0x68
	s_load_b64 s[8:9], s[0:1], 0x10
	s_load_b64 s[2:3], s[0:1], 0x30
	s_waitcnt lgkmcnt(0)
	s_bitcmp1_b32 s7, 0
	v_dual_mov_b32 v4, s8 :: v_dual_mov_b32 v5, s9
	s_cselect_b32 s7, -1, 0
	s_delay_alu instid0(SALU_CYCLE_1)
	s_and_b32 vcc_lo, exec_lo, s7
	s_xor_b32 s7, s7, -1
	s_cbranch_vccnz .LBB10_2
; %bb.1:
	v_dual_mov_b32 v1, s8 :: v_dual_mov_b32 v2, s9
	flat_load_b64 v[4:5], v[1:2]
.LBB10_2:
	v_dual_mov_b32 v7, s3 :: v_dual_mov_b32 v6, s2
	s_and_not1_b32 vcc_lo, exec_lo, s7
	s_cbranch_vccnz .LBB10_4
; %bb.3:
	v_dual_mov_b32 v1, s2 :: v_dual_mov_b32 v2, s3
	flat_load_b64 v[6:7], v[1:2]
.LBB10_4:
	s_load_b128 s[8:11], s[0:1], 0x0
	v_lshrrev_b32_e32 v12, 5, v0
	s_lshl_b32 s2, s15, 3
	s_delay_alu instid0(VALU_DEP_1) | instid1(SALU_CYCLE_1)
	v_and_or_b32 v1, 0x7fffff8, s2, v12
	s_mov_b32 s2, exec_lo
	s_waitcnt lgkmcnt(0)
	s_delay_alu instid0(VALU_DEP_1)
	v_cmpx_gt_i32_e64 s9, v1
	s_cbranch_execz .LBB10_39
; %bb.5:
	s_clause 0x2
	s_load_b128 s[12:15], s[0:1], 0x18
	s_load_b128 s[16:19], s[0:1], 0x38
	s_load_b64 s[2:3], s[0:1], 0x50
	v_lshlrev_b32_e32 v1, 2, v1
	s_waitcnt lgkmcnt(0)
	s_clause 0x2
	global_load_b64 v[2:3], v1, s[12:13]
	global_load_b64 v[8:9], v1, s[16:17]
	global_load_b32 v13, v1, s[2:3]
	s_waitcnt vmcnt(2)
	v_subrev_nc_u32_e32 v1, s4, v2
	v_cmp_lt_i32_e32 vcc_lo, v2, v3
	v_mov_b32_e32 v2, s10
	s_and_saveexec_b32 s2, vcc_lo
	s_cbranch_execz .LBB10_7
; %bb.6:
	v_ashrrev_i32_e32 v2, 31, v1
	s_delay_alu instid0(VALU_DEP_1) | instskip(NEXT) | instid1(VALU_DEP_1)
	v_lshlrev_b64 v[10:11], 2, v[1:2]
	v_add_co_u32 v10, vcc_lo, s14, v10
	s_delay_alu instid0(VALU_DEP_2)
	v_add_co_ci_u32_e32 v11, vcc_lo, s15, v11, vcc_lo
	global_load_b32 v2, v[10:11], off
	s_waitcnt vmcnt(0)
	v_subrev_nc_u32_e32 v2, s4, v2
.LBB10_7:
	s_or_b32 exec_lo, exec_lo, s2
	s_clause 0x2
	s_load_b128 s[20:23], s[0:1], 0x58
	s_load_b64 s[2:3], s[0:1], 0x28
	s_load_b64 s[12:13], s[0:1], 0x48
	s_waitcnt vmcnt(1)
	v_subrev_nc_u32_e32 v10, s5, v8
	v_cmp_lt_i32_e32 vcc_lo, v8, v9
	v_mov_b32_e32 v8, s10
	s_and_saveexec_b32 s0, vcc_lo
	s_cbranch_execz .LBB10_9
; %bb.8:
	v_ashrrev_i32_e32 v11, 31, v10
	s_delay_alu instid0(VALU_DEP_1) | instskip(NEXT) | instid1(VALU_DEP_1)
	v_lshlrev_b64 v[14:15], 2, v[10:11]
	v_add_co_u32 v14, vcc_lo, s18, v14
	s_delay_alu instid0(VALU_DEP_2)
	v_add_co_ci_u32_e32 v15, vcc_lo, s19, v15, vcc_lo
	global_load_b32 v8, v[14:15], off
	s_waitcnt vmcnt(0)
	v_subrev_nc_u32_e32 v8, s5, v8
.LBB10_9:
	s_or_b32 exec_lo, exec_lo, s0
	s_movk_i32 s0, 0xe0
	v_subrev_nc_u32_e32 v31, s4, v3
	v_and_b32_e32 v3, 31, v0
	v_and_or_b32 v32, v0, s0, 0x4800
	v_mbcnt_lo_u32_b32 v0, -1, 0
	v_min_i32_e32 v47, v8, v2
	v_mul_u32_u24_e32 v11, 0x120, v12
	v_subrev_nc_u32_e32 v34, s5, v9
	s_mov_b32 s16, 0
	v_xor_b32_e32 v2, 16, v0
	v_xor_b32_e32 v9, 4, v0
	;; [unrolled: 1-line block ×3, first 2 shown]
	v_lshlrev_b32_e32 v33, 3, v11
	v_xor_b32_e32 v11, 2, v0
	v_cmp_gt_i32_e32 vcc_lo, 32, v2
	s_mov_b32 s24, s16
	s_mov_b32 s17, s16
	;; [unrolled: 1-line block ×3, first 2 shown]
	s_waitcnt vmcnt(0)
	v_subrev_nc_u32_e32 v35, s6, v13
	v_cndmask_b32_e32 v2, v0, v2, vcc_lo
	v_add_nc_u32_e32 v8, v1, v3
	v_xor_b32_e32 v1, 31, v3
	s_cmp_lg_u32 s8, 0
	v_dual_mov_b32 v13, s16 :: v_dual_add_nc_u32 v38, s6, v3
	v_lshlrev_b32_e32 v39, 2, v2
	s_delay_alu instid0(VALU_DEP_3) | instskip(SKIP_4) | instid1(VALU_DEP_2)
	v_lshrrev_b32_e64 v37, v1, -1
	v_xor_b32_e32 v1, 8, v0
	v_dual_mov_b32 v45, 1 :: v_dual_add_nc_u32 v44, v32, v3
	s_cselect_b32 s1, -1, 0
	s_cmp_eq_u32 s8, 0
	v_cmp_gt_i32_e32 vcc_lo, 32, v1
	s_cselect_b32 s6, 8, 24
	s_cselect_b32 s7, 16, 48
	;; [unrolled: 1-line block ×4, first 2 shown]
	v_cndmask_b32_e32 v1, v0, v1, vcc_lo
	v_cmp_gt_i32_e32 vcc_lo, 32, v9
	v_add_nc_u32_e32 v10, v10, v3
	s_cselect_b32 s11, 48, 16
	v_mov_b32_e32 v14, s17
	v_lshlrev_b32_e32 v40, 2, v1
	v_cndmask_b32_e32 v9, v0, v9, vcc_lo
	v_cmp_gt_i32_e32 vcc_lo, 32, v11
	s_cselect_b32 s17, 56, 40
	v_dual_mov_b32 v15, s24 :: v_dual_mov_b32 v16, s25
	s_delay_alu instid0(VALU_DEP_3) | instskip(SKIP_2) | instid1(VALU_DEP_2)
	v_lshlrev_b32_e32 v41, 2, v9
	v_cndmask_b32_e32 v11, v0, v11, vcc_lo
	v_cmp_gt_i32_e32 vcc_lo, 32, v12
	v_lshlrev_b32_e32 v42, 2, v11
	v_cndmask_b32_e32 v0, v0, v12, vcc_lo
	v_mov_b32_e32 v12, 0
	v_mad_u32_u24 v36, 0x48, v3, v33
	s_delay_alu instid0(VALU_DEP_3) | instskip(NEXT) | instid1(VALU_DEP_3)
	v_lshlrev_b32_e32 v43, 2, v0
	v_mov_b32_e32 v17, v12
	v_mov_b32_e32 v18, v12
	s_branch .LBB10_11
.LBB10_10:                              ;   in Loop: Header=BB10_11 Depth=1
	s_or_b32 exec_lo, exec_lo, s24
	ds_bpermute_b32 v0, v39, v46
	s_bcnt1_i32_b32 s24, vcc_lo
	s_delay_alu instid0(SALU_CYCLE_1)
	v_add_nc_u32_e32 v35, s24, v35
	s_waitcnt lgkmcnt(0)
	v_min_i32_e32 v0, v0, v46
	ds_bpermute_b32 v1, v40, v0
	s_waitcnt lgkmcnt(0)
	v_min_i32_e32 v0, v1, v0
	ds_bpermute_b32 v1, v41, v0
	;; [unrolled: 3-line block ×4, first 2 shown]
	s_waitcnt lgkmcnt(0)
	v_min_i32_e32 v47, v1, v0
	s_delay_alu instid0(VALU_DEP_1) | instskip(NEXT) | instid1(VALU_DEP_1)
	v_cmp_le_i32_e64 s0, s10, v47
	s_or_b32 s16, s0, s16
	s_delay_alu instid0(SALU_CYCLE_1)
	s_and_not1_b32 exec_lo, exec_lo, s16
	s_cbranch_execz .LBB10_39
.LBB10_11:                              ; =>This Loop Header: Depth=1
                                        ;     Child Loop BB10_14 Depth 2
                                        ;     Child Loop BB10_27 Depth 2
	v_mov_b32_e32 v46, s10
	s_mov_b32 s24, exec_lo
	ds_store_2addr_b64 v36, v[13:14], v[15:16] offset1:1
	ds_store_2addr_b64 v36, v[13:14], v[15:16] offset0:2 offset1:3
	ds_store_2addr_b64 v36, v[13:14], v[15:16] offset0:4 offset1:5
	;; [unrolled: 1-line block ×3, first 2 shown]
	ds_store_b8 v44, v12
	ds_store_b64 v36, v[17:18] offset:64
	s_waitcnt lgkmcnt(0)
	buffer_gl0_inv
	v_cmpx_lt_i32_e64 v8, v31
	s_cbranch_execz .LBB10_24
; %bb.12:                               ;   in Loop: Header=BB10_11 Depth=1
	v_mad_u64_u32 v[0:1], null, v8, 9, 8
	v_mov_b32_e32 v46, s10
	s_mov_b32 s25, 0
	s_branch .LBB10_14
.LBB10_13:                              ;   in Loop: Header=BB10_14 Depth=2
	s_or_b32 exec_lo, exec_lo, s27
	s_delay_alu instid0(SALU_CYCLE_1) | instskip(NEXT) | instid1(SALU_CYCLE_1)
	s_and_b32 s0, exec_lo, s26
	s_or_b32 s25, s0, s25
	s_delay_alu instid0(SALU_CYCLE_1)
	s_and_not1_b32 exec_lo, exec_lo, s25
	s_cbranch_execz .LBB10_23
.LBB10_14:                              ;   Parent Loop BB10_11 Depth=1
                                        ; =>  This Inner Loop Header: Depth=2
	v_ashrrev_i32_e32 v9, 31, v8
	s_mov_b32 s26, exec_lo
	s_delay_alu instid0(VALU_DEP_1) | instskip(NEXT) | instid1(VALU_DEP_1)
	v_lshlrev_b64 v[1:2], 2, v[8:9]
	v_add_co_u32 v1, vcc_lo, s14, v1
	s_delay_alu instid0(VALU_DEP_2) | instskip(SKIP_3) | instid1(VALU_DEP_1)
	v_add_co_ci_u32_e32 v2, vcc_lo, s15, v2, vcc_lo
	global_load_b32 v1, v[1:2], off
	s_waitcnt vmcnt(0)
	v_subrev_nc_u32_e32 v2, s4, v1
	v_sub_nc_u32_e32 v1, v2, v47
	s_delay_alu instid0(VALU_DEP_1)
	v_cmp_gt_u32_e64 s0, 32, v1
	v_cmpx_lt_u32_e32 31, v1
	s_xor_b32 s26, exec_lo, s26
; %bb.15:                               ;   in Loop: Header=BB10_14 Depth=2
	v_min_i32_e32 v46, v2, v46
                                        ; implicit-def: $vgpr1
; %bb.16:                               ;   in Loop: Header=BB10_14 Depth=2
	s_and_not1_saveexec_b32 s26, s26
	s_cbranch_execz .LBB10_21
; %bb.17:                               ;   in Loop: Header=BB10_14 Depth=2
	v_add_nc_u32_e32 v11, -8, v0
	v_mul_lo_u32 v9, 0x48, v1
	v_add_nc_u32_e32 v1, v32, v1
	v_add_nc_u32_e32 v21, -2, v0
	v_add_nc_u32_e32 v27, -7, v0
	v_lshlrev_b64 v[2:3], 3, v[11:12]
	v_add_nc_u32_e32 v11, -4, v0
	v_add_nc_u32_e32 v19, -1, v0
	;; [unrolled: 1-line block ×3, first 2 shown]
	v_add_nc_u32_e32 v9, v33, v9
	v_add_nc_u32_e32 v23, -3, v0
	v_add_co_u32 v2, vcc_lo, s2, v2
	v_add_co_ci_u32_e32 v3, vcc_lo, s3, v3, vcc_lo
	global_load_b64 v[2:3], v[2:3], off
	s_waitcnt vmcnt(0)
	v_mul_f64 v[28:29], v[4:5], v[2:3]
	v_lshlrev_b64 v[2:3], 3, v[11:12]
	v_add_nc_u32_e32 v11, -5, v0
	ds_store_b8 v1, v45
	ds_store_b64 v9, v[28:29]
	v_add_co_u32 v2, vcc_lo, s2, v2
	v_add_co_ci_u32_e32 v3, vcc_lo, s3, v3, vcc_lo
	s_and_not1_b32 vcc_lo, exec_lo, s1
	s_cbranch_vccnz .LBB10_19
; %bb.18:                               ;   in Loop: Header=BB10_14 Depth=2
	v_mov_b32_e32 v22, v12
	v_lshlrev_b64 v[29:30], 3, v[11:12]
	v_mov_b32_e32 v28, v12
	v_mov_b32_e32 v20, v12
	v_mov_b32_e32 v26, v12
	v_lshlrev_b64 v[48:49], 3, v[21:22]
	v_mov_b32_e32 v24, v12
	v_lshlrev_b64 v[50:51], 3, v[27:28]
	v_add_co_u32 v28, vcc_lo, s2, v29
	v_add_co_ci_u32_e32 v29, vcc_lo, s3, v30, vcc_lo
	v_add_co_u32 v48, vcc_lo, s2, v48
	v_lshlrev_b64 v[52:53], 3, v[19:20]
	v_add_co_ci_u32_e32 v49, vcc_lo, s3, v49, vcc_lo
	v_add_co_u32 v50, vcc_lo, s2, v50
	v_lshlrev_b64 v[54:55], 3, v[25:26]
	v_mov_b32_e32 v1, v12
	v_add_co_ci_u32_e32 v51, vcc_lo, s3, v51, vcc_lo
	v_add_co_u32 v52, vcc_lo, s2, v52
	v_lshlrev_b64 v[56:57], 3, v[23:24]
	v_add_co_ci_u32_e32 v53, vcc_lo, s3, v53, vcc_lo
	v_add_co_u32 v54, vcc_lo, s2, v54
	v_lshlrev_b64 v[58:59], 3, v[0:1]
	v_add_co_ci_u32_e32 v55, vcc_lo, s3, v55, vcc_lo
	v_add_co_u32 v56, vcc_lo, s2, v56
	v_add_co_ci_u32_e32 v57, vcc_lo, s3, v57, vcc_lo
	s_delay_alu instid0(VALU_DEP_4)
	v_add_co_u32 v58, vcc_lo, s2, v58
	s_clause 0x2
	global_load_b64 v[28:29], v[28:29], off
	global_load_b64 v[48:49], v[48:49], off
	;; [unrolled: 1-line block ×3, first 2 shown]
	v_add_co_ci_u32_e32 v59, vcc_lo, s3, v59, vcc_lo
	s_clause 0x4
	global_load_b64 v[60:61], v[2:3], off
	global_load_b64 v[52:53], v[52:53], off
	;; [unrolled: 1-line block ×5, first 2 shown]
	s_waitcnt vmcnt(7)
	v_mul_f64 v[28:29], v[4:5], v[28:29]
	s_waitcnt vmcnt(6)
	v_mul_f64 v[48:49], v[4:5], v[48:49]
	;; [unrolled: 2-line block ×8, first 2 shown]
	ds_store_2addr_b64 v9, v[28:29], v[48:49] offset0:1 offset1:2
	ds_store_2addr_b64 v9, v[50:51], v[60:61] offset0:3 offset1:4
	;; [unrolled: 1-line block ×4, first 2 shown]
	s_cbranch_execz .LBB10_20
	s_branch .LBB10_21
.LBB10_19:                              ;   in Loop: Header=BB10_14 Depth=2
.LBB10_20:                              ;   in Loop: Header=BB10_14 Depth=2
	v_mov_b32_e32 v28, v12
	v_mov_b32_e32 v26, v12
	v_lshlrev_b64 v[29:30], 3, v[11:12]
	v_mov_b32_e32 v22, v12
	v_mov_b32_e32 v20, v12
	v_lshlrev_b64 v[27:28], 3, v[27:28]
	v_lshlrev_b64 v[24:25], 3, v[25:26]
	v_mov_b32_e32 v1, v12
	v_lshlrev_b64 v[21:22], 3, v[21:22]
	v_lshlrev_b64 v[19:20], 3, v[19:20]
	v_add_co_u32 v26, vcc_lo, s2, v27
	v_add_co_ci_u32_e32 v27, vcc_lo, s3, v28, vcc_lo
	v_add_co_u32 v48, vcc_lo, s2, v24
	v_mov_b32_e32 v24, v12
	v_add_co_ci_u32_e32 v49, vcc_lo, s3, v25, vcc_lo
	v_add_co_u32 v28, vcc_lo, s2, v29
	s_delay_alu instid0(VALU_DEP_3)
	v_lshlrev_b64 v[23:24], 3, v[23:24]
	v_add_co_ci_u32_e32 v29, vcc_lo, s3, v30, vcc_lo
	s_clause 0x2
	global_load_b64 v[25:26], v[26:27], off
	global_load_b64 v[48:49], v[48:49], off
	;; [unrolled: 1-line block ×3, first 2 shown]
	v_lshlrev_b64 v[29:30], 3, v[0:1]
	v_add_co_u32 v23, vcc_lo, s2, v23
	v_add_co_ci_u32_e32 v24, vcc_lo, s3, v24, vcc_lo
	v_add_co_u32 v21, vcc_lo, s2, v21
	v_add_co_ci_u32_e32 v22, vcc_lo, s3, v22, vcc_lo
	;; [unrolled: 2-line block ×4, first 2 shown]
	s_clause 0x4
	global_load_b64 v[1:2], v[2:3], off
	global_load_b64 v[23:24], v[23:24], off
	global_load_b64 v[21:22], v[21:22], off
	global_load_b64 v[19:20], v[19:20], off
	global_load_b64 v[29:30], v[29:30], off
	s_waitcnt vmcnt(7)
	v_mul_f64 v[25:26], v[4:5], v[25:26]
	s_waitcnt vmcnt(6)
	v_mul_f64 v[48:49], v[4:5], v[48:49]
	;; [unrolled: 2-line block ×8, first 2 shown]
	ds_store_2addr_b64 v9, v[25:26], v[48:49] offset0:1 offset1:2
	ds_store_2addr_b64 v9, v[27:28], v[1:2] offset0:3 offset1:4
	;; [unrolled: 1-line block ×4, first 2 shown]
.LBB10_21:                              ;   in Loop: Header=BB10_14 Depth=2
	s_or_b32 exec_lo, exec_lo, s26
	s_mov_b32 s26, -1
	s_and_saveexec_b32 s27, s0
	s_cbranch_execz .LBB10_13
; %bb.22:                               ;   in Loop: Header=BB10_14 Depth=2
	v_add_nc_u32_e32 v8, 32, v8
	v_add_nc_u32_e32 v0, 0x120, v0
	s_delay_alu instid0(VALU_DEP_2)
	v_cmp_ge_i32_e32 vcc_lo, v8, v31
	s_or_not1_b32 s26, vcc_lo, exec_lo
	s_branch .LBB10_13
.LBB10_23:                              ;   in Loop: Header=BB10_11 Depth=1
	s_or_b32 exec_lo, exec_lo, s25
.LBB10_24:                              ;   in Loop: Header=BB10_11 Depth=1
	s_delay_alu instid0(SALU_CYCLE_1) | instskip(NEXT) | instid1(SALU_CYCLE_1)
	s_or_b32 exec_lo, exec_lo, s24
	s_mov_b32 s24, exec_lo
	s_waitcnt lgkmcnt(0)
	buffer_gl0_inv
	v_cmpx_lt_i32_e64 v10, v34
	s_cbranch_execz .LBB10_37
; %bb.25:                               ;   in Loop: Header=BB10_11 Depth=1
	v_mad_u64_u32 v[19:20], null, v10, 9, 8
	s_mov_b32 s25, 0
	s_branch .LBB10_27
.LBB10_26:                              ;   in Loop: Header=BB10_27 Depth=2
	s_or_b32 exec_lo, exec_lo, s27
	s_delay_alu instid0(SALU_CYCLE_1) | instskip(NEXT) | instid1(SALU_CYCLE_1)
	s_and_b32 s0, exec_lo, s26
	s_or_b32 s25, s0, s25
	s_delay_alu instid0(SALU_CYCLE_1)
	s_and_not1_b32 exec_lo, exec_lo, s25
	s_cbranch_execz .LBB10_36
.LBB10_27:                              ;   Parent Loop BB10_11 Depth=1
                                        ; =>  This Inner Loop Header: Depth=2
	v_ashrrev_i32_e32 v11, 31, v10
	s_mov_b32 s26, exec_lo
	s_delay_alu instid0(VALU_DEP_1) | instskip(NEXT) | instid1(VALU_DEP_1)
	v_lshlrev_b64 v[0:1], 2, v[10:11]
	v_add_co_u32 v0, vcc_lo, s18, v0
	s_delay_alu instid0(VALU_DEP_2) | instskip(SKIP_3) | instid1(VALU_DEP_1)
	v_add_co_ci_u32_e32 v1, vcc_lo, s19, v1, vcc_lo
	global_load_b32 v0, v[0:1], off
	s_waitcnt vmcnt(0)
	v_subrev_nc_u32_e32 v0, s5, v0
	v_sub_nc_u32_e32 v20, v0, v47
	s_delay_alu instid0(VALU_DEP_1)
	v_cmp_gt_u32_e64 s0, 32, v20
	v_cmpx_lt_u32_e32 31, v20
	s_xor_b32 s26, exec_lo, s26
; %bb.28:                               ;   in Loop: Header=BB10_27 Depth=2
	v_min_i32_e32 v46, v0, v46
                                        ; implicit-def: $vgpr20
; %bb.29:                               ;   in Loop: Header=BB10_27 Depth=2
	s_and_not1_saveexec_b32 s26, s26
	s_cbranch_execz .LBB10_34
; %bb.30:                               ;   in Loop: Header=BB10_27 Depth=2
	v_add_nc_u32_e32 v11, -8, v19
	v_add_nc_u32_e32 v23, -2, v19
	;; [unrolled: 1-line block ×5, first 2 shown]
	v_lshlrev_b64 v[0:1], 3, v[11:12]
	v_add_nc_u32_e32 v11, -4, v19
	s_delay_alu instid0(VALU_DEP_2) | instskip(NEXT) | instid1(VALU_DEP_3)
	v_add_co_u32 v0, vcc_lo, s12, v0
	v_add_co_ci_u32_e32 v1, vcc_lo, s13, v1, vcc_lo
	global_load_b64 v[21:22], v[0:1], off
	v_mul_lo_u32 v0, 0x48, v20
	v_add_nc_u32_e32 v20, v32, v20
	s_delay_alu instid0(VALU_DEP_2)
	v_add_nc_u32_e32 v9, v33, v0
	ds_load_2addr_b64 v[0:3], v9 offset1:1
	s_waitcnt vmcnt(0) lgkmcnt(0)
	v_fma_f64 v[48:49], v[6:7], v[21:22], v[0:1]
	v_lshlrev_b64 v[0:1], 3, v[11:12]
	v_add_nc_u32_e32 v11, -5, v19
	ds_store_b8 v20, v45
	ds_store_b64 v9, v[48:49]
	v_add_co_u32 v21, vcc_lo, s12, v0
	v_add_co_ci_u32_e32 v22, vcc_lo, s13, v1, vcc_lo
	v_add_nc_u32_e32 v0, -1, v19
	s_and_not1_b32 vcc_lo, exec_lo, s1
	s_cbranch_vccnz .LBB10_32
; %bb.31:                               ;   in Loop: Header=BB10_27 Depth=2
	v_mov_b32_e32 v24, v12
	v_lshlrev_b64 v[48:49], 3, v[11:12]
	v_mov_b32_e32 v30, v12
	v_mov_b32_e32 v1, v12
	;; [unrolled: 1-line block ×3, first 2 shown]
	v_lshlrev_b64 v[50:51], 3, v[23:24]
	v_mov_b32_e32 v26, v12
	v_lshlrev_b64 v[52:53], 3, v[29:30]
	v_add_co_u32 v48, vcc_lo, s12, v48
	v_add_co_ci_u32_e32 v49, vcc_lo, s13, v49, vcc_lo
	v_add_co_u32 v50, vcc_lo, s12, v50
	v_lshlrev_b64 v[54:55], 3, v[0:1]
	v_add_co_ci_u32_e32 v51, vcc_lo, s13, v51, vcc_lo
	v_add_co_u32 v52, vcc_lo, s12, v52
	v_lshlrev_b64 v[56:57], 3, v[27:28]
	v_mov_b32_e32 v20, v12
	v_add_co_ci_u32_e32 v53, vcc_lo, s13, v53, vcc_lo
	v_add_co_u32 v54, vcc_lo, s12, v54
	v_lshlrev_b64 v[58:59], 3, v[25:26]
	v_add_co_ci_u32_e32 v55, vcc_lo, s13, v55, vcc_lo
	v_add_co_u32 v56, vcc_lo, s12, v56
	v_lshlrev_b64 v[62:63], 3, v[19:20]
	v_add_co_ci_u32_e32 v57, vcc_lo, s13, v57, vcc_lo
	v_add_co_u32 v58, vcc_lo, s12, v58
	v_add_co_ci_u32_e32 v59, vcc_lo, s13, v59, vcc_lo
	global_load_b64 v[60:61], v[21:22], off
	v_add_co_u32 v62, vcc_lo, s12, v62
	v_add_co_ci_u32_e32 v63, vcc_lo, s13, v63, vcc_lo
	s_clause 0x6
	global_load_b64 v[64:65], v[48:49], off
	global_load_b64 v[66:67], v[50:51], off
	;; [unrolled: 1-line block ×7, first 2 shown]
	ds_load_2addr_b64 v[48:51], v9 offset0:4 offset1:5
	ds_load_2addr_b64 v[52:55], v9 offset0:2 offset1:3
	;; [unrolled: 1-line block ×3, first 2 shown]
	ds_load_b64 v[76:77], v9 offset:64
	s_waitcnt vmcnt(7) lgkmcnt(3)
	v_fma_f64 v[48:49], v[6:7], v[60:61], v[48:49]
	s_waitcnt vmcnt(6)
	v_fma_f64 v[60:61], v[6:7], v[64:65], v[2:3]
	s_waitcnt vmcnt(5) lgkmcnt(2)
	v_fma_f64 v[52:53], v[6:7], v[66:67], v[52:53]
	s_waitcnt vmcnt(4)
	v_fma_f64 v[54:55], v[6:7], v[68:69], v[54:55]
	s_waitcnt vmcnt(3)
	v_fma_f64 v[50:51], v[6:7], v[70:71], v[50:51]
	s_waitcnt vmcnt(2) lgkmcnt(1)
	v_fma_f64 v[56:57], v[6:7], v[72:73], v[56:57]
	s_waitcnt vmcnt(1)
	v_fma_f64 v[58:59], v[6:7], v[74:75], v[58:59]
	s_waitcnt vmcnt(0) lgkmcnt(0)
	v_fma_f64 v[62:63], v[6:7], v[62:63], v[76:77]
	ds_store_2addr_b64 v9, v[60:61], v[52:53] offset0:1 offset1:2
	ds_store_2addr_b64 v9, v[54:55], v[48:49] offset0:3 offset1:4
	ds_store_2addr_b64 v9, v[50:51], v[56:57] offset0:5 offset1:6
	ds_store_2addr_b64 v9, v[58:59], v[62:63] offset0:7 offset1:8
	s_cbranch_execz .LBB10_33
	s_branch .LBB10_34
.LBB10_32:                              ;   in Loop: Header=BB10_27 Depth=2
.LBB10_33:                              ;   in Loop: Header=BB10_27 Depth=2
	v_mov_b32_e32 v30, v12
	v_mov_b32_e32 v28, v12
	;; [unrolled: 1-line block ×3, first 2 shown]
	v_lshlrev_b64 v[48:49], 3, v[11:12]
	v_mov_b32_e32 v24, v12
	v_lshlrev_b64 v[29:30], 3, v[29:30]
	v_lshlrev_b64 v[27:28], 3, v[27:28]
	;; [unrolled: 1-line block ×3, first 2 shown]
	v_mov_b32_e32 v1, v12
	global_load_b64 v[52:53], v[21:22], off
	v_lshlrev_b64 v[21:22], 3, v[23:24]
	v_add_co_u32 v29, vcc_lo, s12, v29
	v_add_co_ci_u32_e32 v30, vcc_lo, s13, v30, vcc_lo
	v_add_co_u32 v27, vcc_lo, s12, v27
	v_add_co_ci_u32_e32 v28, vcc_lo, s13, v28, vcc_lo
	v_add_co_u32 v48, vcc_lo, s12, v48
	v_mov_b32_e32 v20, v12
	v_add_co_ci_u32_e32 v49, vcc_lo, s13, v49, vcc_lo
	v_add_co_u32 v23, vcc_lo, s12, v25
	v_lshlrev_b64 v[0:1], 3, v[0:1]
	v_add_co_ci_u32_e32 v24, vcc_lo, s13, v26, vcc_lo
	v_add_co_u32 v21, vcc_lo, s12, v21
	v_lshlrev_b64 v[25:26], 3, v[19:20]
	v_add_co_ci_u32_e32 v22, vcc_lo, s13, v22, vcc_lo
	v_add_co_u32 v0, vcc_lo, s12, v0
	v_add_co_ci_u32_e32 v1, vcc_lo, s13, v1, vcc_lo
	s_delay_alu instid0(VALU_DEP_4)
	v_add_co_u32 v25, vcc_lo, s12, v25
	v_add_co_ci_u32_e32 v26, vcc_lo, s13, v26, vcc_lo
	s_clause 0x6
	global_load_b64 v[29:30], v[29:30], off
	global_load_b64 v[54:55], v[27:28], off
	;; [unrolled: 1-line block ×7, first 2 shown]
	ds_load_2addr_b64 v[20:23], v9 offset0:4 offset1:5
	ds_load_2addr_b64 v[24:27], v9 offset0:2 offset1:3
	;; [unrolled: 1-line block ×3, first 2 shown]
	ds_load_b64 v[64:65], v9 offset:64
	s_waitcnt vmcnt(7) lgkmcnt(3)
	v_fma_f64 v[20:21], v[6:7], v[52:53], v[20:21]
	s_waitcnt vmcnt(6)
	v_fma_f64 v[2:3], v[6:7], v[29:30], v[2:3]
	s_waitcnt vmcnt(5) lgkmcnt(2)
	v_fma_f64 v[24:25], v[6:7], v[54:55], v[24:25]
	s_waitcnt vmcnt(4)
	v_fma_f64 v[26:27], v[6:7], v[56:57], v[26:27]
	s_waitcnt vmcnt(3)
	v_fma_f64 v[22:23], v[6:7], v[58:59], v[22:23]
	s_waitcnt vmcnt(2) lgkmcnt(1)
	v_fma_f64 v[28:29], v[6:7], v[60:61], v[48:49]
	s_waitcnt vmcnt(1)
	v_fma_f64 v[0:1], v[6:7], v[0:1], v[50:51]
	s_waitcnt vmcnt(0) lgkmcnt(0)
	v_fma_f64 v[48:49], v[6:7], v[62:63], v[64:65]
	ds_store_2addr_b64 v9, v[2:3], v[24:25] offset0:1 offset1:2
	ds_store_2addr_b64 v9, v[26:27], v[20:21] offset0:3 offset1:4
	;; [unrolled: 1-line block ×4, first 2 shown]
.LBB10_34:                              ;   in Loop: Header=BB10_27 Depth=2
	s_or_b32 exec_lo, exec_lo, s26
	s_mov_b32 s26, -1
	s_and_saveexec_b32 s27, s0
	s_cbranch_execz .LBB10_26
; %bb.35:                               ;   in Loop: Header=BB10_27 Depth=2
	v_add_nc_u32_e32 v10, 32, v10
	v_add_nc_u32_e32 v19, 0x120, v19
	s_delay_alu instid0(VALU_DEP_2)
	v_cmp_ge_i32_e32 vcc_lo, v10, v34
	s_or_not1_b32 s26, vcc_lo, exec_lo
	s_branch .LBB10_26
.LBB10_36:                              ;   in Loop: Header=BB10_11 Depth=1
	s_or_b32 exec_lo, exec_lo, s25
.LBB10_37:                              ;   in Loop: Header=BB10_11 Depth=1
	s_delay_alu instid0(SALU_CYCLE_1)
	s_or_b32 exec_lo, exec_lo, s24
	s_waitcnt lgkmcnt(0)
	buffer_gl0_inv
	ds_load_u8 v0, v44
	s_mov_b32 s24, exec_lo
	s_waitcnt lgkmcnt(0)
	v_and_b32_e32 v1, 1, v0
	v_cmp_ne_u16_e32 vcc_lo, 0, v0
	s_delay_alu instid0(VALU_DEP_2)
	v_cmpx_eq_u32_e32 1, v1
	s_cbranch_execz .LBB10_10
; %bb.38:                               ;   in Loop: Header=BB10_11 Depth=1
	v_dual_mov_b32 v21, v12 :: v_dual_and_b32 v0, vcc_lo, v37
	v_add_nc_u32_e32 v9, v38, v47
	v_add_nc_u32_e32 v30, s8, v36
	;; [unrolled: 1-line block ×3, first 2 shown]
	s_delay_alu instid0(VALU_DEP_4) | instskip(SKIP_3) | instid1(VALU_DEP_4)
	v_bcnt_u32_b32 v0, v0, 0
	v_add_nc_u32_e32 v61, s11, v36
	v_dual_mov_b32 v48, v12 :: v_dual_add_nc_u32 v63, s17, v36
	v_mov_b32_e32 v50, v12
	v_add3_u32 v19, v35, v0, -1
	ds_load_2addr_b64 v[0:3], v36 offset1:4
	v_mov_b32_e32 v52, v12
	v_ashrrev_i32_e32 v20, 31, v19
	v_lshl_add_u32 v11, v19, 3, v19
	v_mov_b32_e32 v23, v12
	v_mov_b32_e32 v25, v12
	s_delay_alu instid0(VALU_DEP_4) | instskip(NEXT) | instid1(VALU_DEP_4)
	v_lshlrev_b64 v[26:27], 2, v[19:20]
	v_add_nc_u32_e32 v22, 2, v11
	v_add_nc_u32_e32 v20, 1, v11
	v_lshlrev_b64 v[28:29], 3, v[11:12]
	v_add_nc_u32_e32 v24, 3, v11
	v_add_nc_u32_e32 v19, 4, v11
	v_add_co_u32 v26, s0, s20, v26
	v_lshlrev_b64 v[20:21], 3, v[20:21]
	v_add_co_ci_u32_e64 v27, s0, s21, v27, s0
	v_lshlrev_b64 v[22:23], 3, v[22:23]
	v_add_co_u32 v28, s0, s22, v28
	s_delay_alu instid0(VALU_DEP_1) | instskip(SKIP_3) | instid1(VALU_DEP_1)
	v_add_co_ci_u32_e64 v29, s0, s23, v29, s0
	v_lshlrev_b64 v[24:25], 3, v[24:25]
	global_store_b32 v[26:27], v9, off
	v_add_co_u32 v26, s0, s22, v20
	v_add_co_ci_u32_e64 v27, s0, s23, v21, s0
	v_add_co_u32 v21, s0, s22, v22
	s_delay_alu instid0(VALU_DEP_1)
	v_add_co_ci_u32_e64 v22, s0, s23, v23, s0
	v_add_co_u32 v23, s0, s22, v24
	v_dual_mov_b32 v20, v12 :: v_dual_add_nc_u32 v9, s6, v36
	v_add_co_ci_u32_e64 v24, s0, s23, v25, s0
	v_add_nc_u32_e32 v25, s7, v36
	v_add_nc_u32_e32 v47, 5, v11
	s_delay_alu instid0(VALU_DEP_4)
	v_lshlrev_b64 v[19:20], 3, v[19:20]
	ds_load_b64 v[53:54], v9
	ds_load_b64 v[55:56], v25
	;; [unrolled: 1-line block ×6, first 2 shown]
	ds_load_b64 v[65:66], v36 offset:64
	v_add_nc_u32_e32 v49, 6, v11
	v_lshlrev_b64 v[47:48], 3, v[47:48]
	v_add_nc_u32_e32 v51, 7, v11
	v_add_co_u32 v19, s0, s22, v19
	s_delay_alu instid0(VALU_DEP_4)
	v_lshlrev_b64 v[49:50], 3, v[49:50]
	v_add_nc_u32_e32 v11, 8, v11
	v_add_co_ci_u32_e64 v20, s0, s23, v20, s0
	v_add_co_u32 v47, s0, s22, v47
	v_lshlrev_b64 v[51:52], 3, v[51:52]
	v_add_co_ci_u32_e64 v48, s0, s23, v48, s0
	v_add_co_u32 v49, s0, s22, v49
	v_lshlrev_b64 v[67:68], 3, v[11:12]
	v_add_co_ci_u32_e64 v50, s0, s23, v50, s0
	v_add_co_u32 v51, s0, s22, v51
	s_delay_alu instid0(VALU_DEP_1) | instskip(NEXT) | instid1(VALU_DEP_4)
	v_add_co_ci_u32_e64 v52, s0, s23, v52, s0
	v_add_co_u32 v67, s0, s22, v67
	s_delay_alu instid0(VALU_DEP_1)
	v_add_co_ci_u32_e64 v68, s0, s23, v68, s0
	s_waitcnt lgkmcnt(7)
	global_store_b64 v[28:29], v[0:1], off
	s_waitcnt lgkmcnt(6)
	global_store_b64 v[26:27], v[53:54], off
	;; [unrolled: 2-line block ×3, first 2 shown]
	s_waitcnt lgkmcnt(4)
	s_clause 0x1
	global_store_b64 v[23:24], v[57:58], off
	global_store_b64 v[19:20], v[2:3], off
	s_waitcnt lgkmcnt(3)
	global_store_b64 v[47:48], v[59:60], off
	s_waitcnt lgkmcnt(2)
	;; [unrolled: 2-line block ×4, first 2 shown]
	global_store_b64 v[67:68], v[65:66], off
	s_branch .LBB10_10
.LBB10_39:
	s_nop 0
	s_sendmsg sendmsg(MSG_DEALLOC_VGPRS)
	s_endpgm
	.section	.rodata,"a",@progbits
	.p2align	6, 0x0
	.amdhsa_kernel _ZN9rocsparseL39bsrgeam_wf_per_row_multipass_2_3_kernelILj256ELj3ELj32EdEEv20rocsparse_direction_iiiNS_24const_host_device_scalarIT2_EEPKiS6_PKS3_S4_S6_S6_S8_S6_PiPS3_21rocsparse_index_base_SB_SB_b
		.amdhsa_group_segment_fixed_size 18688
		.amdhsa_private_segment_fixed_size 0
		.amdhsa_kernarg_size 120
		.amdhsa_user_sgpr_count 15
		.amdhsa_user_sgpr_dispatch_ptr 0
		.amdhsa_user_sgpr_queue_ptr 0
		.amdhsa_user_sgpr_kernarg_segment_ptr 1
		.amdhsa_user_sgpr_dispatch_id 0
		.amdhsa_user_sgpr_private_segment_size 0
		.amdhsa_wavefront_size32 1
		.amdhsa_uses_dynamic_stack 0
		.amdhsa_enable_private_segment 0
		.amdhsa_system_sgpr_workgroup_id_x 1
		.amdhsa_system_sgpr_workgroup_id_y 0
		.amdhsa_system_sgpr_workgroup_id_z 0
		.amdhsa_system_sgpr_workgroup_info 0
		.amdhsa_system_vgpr_workitem_id 0
		.amdhsa_next_free_vgpr 78
		.amdhsa_next_free_sgpr 28
		.amdhsa_reserve_vcc 1
		.amdhsa_float_round_mode_32 0
		.amdhsa_float_round_mode_16_64 0
		.amdhsa_float_denorm_mode_32 3
		.amdhsa_float_denorm_mode_16_64 3
		.amdhsa_dx10_clamp 1
		.amdhsa_ieee_mode 1
		.amdhsa_fp16_overflow 0
		.amdhsa_workgroup_processor_mode 1
		.amdhsa_memory_ordered 1
		.amdhsa_forward_progress 0
		.amdhsa_shared_vgpr_count 0
		.amdhsa_exception_fp_ieee_invalid_op 0
		.amdhsa_exception_fp_denorm_src 0
		.amdhsa_exception_fp_ieee_div_zero 0
		.amdhsa_exception_fp_ieee_overflow 0
		.amdhsa_exception_fp_ieee_underflow 0
		.amdhsa_exception_fp_ieee_inexact 0
		.amdhsa_exception_int_div_zero 0
	.end_amdhsa_kernel
	.section	.text._ZN9rocsparseL39bsrgeam_wf_per_row_multipass_2_3_kernelILj256ELj3ELj32EdEEv20rocsparse_direction_iiiNS_24const_host_device_scalarIT2_EEPKiS6_PKS3_S4_S6_S6_S8_S6_PiPS3_21rocsparse_index_base_SB_SB_b,"axG",@progbits,_ZN9rocsparseL39bsrgeam_wf_per_row_multipass_2_3_kernelILj256ELj3ELj32EdEEv20rocsparse_direction_iiiNS_24const_host_device_scalarIT2_EEPKiS6_PKS3_S4_S6_S6_S8_S6_PiPS3_21rocsparse_index_base_SB_SB_b,comdat
.Lfunc_end10:
	.size	_ZN9rocsparseL39bsrgeam_wf_per_row_multipass_2_3_kernelILj256ELj3ELj32EdEEv20rocsparse_direction_iiiNS_24const_host_device_scalarIT2_EEPKiS6_PKS3_S4_S6_S6_S8_S6_PiPS3_21rocsparse_index_base_SB_SB_b, .Lfunc_end10-_ZN9rocsparseL39bsrgeam_wf_per_row_multipass_2_3_kernelILj256ELj3ELj32EdEEv20rocsparse_direction_iiiNS_24const_host_device_scalarIT2_EEPKiS6_PKS3_S4_S6_S6_S8_S6_PiPS3_21rocsparse_index_base_SB_SB_b
                                        ; -- End function
	.section	.AMDGPU.csdata,"",@progbits
; Kernel info:
; codeLenInByte = 3768
; NumSgprs: 30
; NumVgprs: 78
; ScratchSize: 0
; MemoryBound: 0
; FloatMode: 240
; IeeeMode: 1
; LDSByteSize: 18688 bytes/workgroup (compile time only)
; SGPRBlocks: 3
; VGPRBlocks: 9
; NumSGPRsForWavesPerEU: 30
; NumVGPRsForWavesPerEU: 78
; Occupancy: 14
; WaveLimiterHint : 1
; COMPUTE_PGM_RSRC2:SCRATCH_EN: 0
; COMPUTE_PGM_RSRC2:USER_SGPR: 15
; COMPUTE_PGM_RSRC2:TRAP_HANDLER: 0
; COMPUTE_PGM_RSRC2:TGID_X_EN: 1
; COMPUTE_PGM_RSRC2:TGID_Y_EN: 0
; COMPUTE_PGM_RSRC2:TGID_Z_EN: 0
; COMPUTE_PGM_RSRC2:TIDIG_COMP_CNT: 0
	.section	.text._ZN9rocsparseL39bsrgeam_wf_per_row_multipass_2_3_kernelILj256ELj3ELj64EdEEv20rocsparse_direction_iiiNS_24const_host_device_scalarIT2_EEPKiS6_PKS3_S4_S6_S6_S8_S6_PiPS3_21rocsparse_index_base_SB_SB_b,"axG",@progbits,_ZN9rocsparseL39bsrgeam_wf_per_row_multipass_2_3_kernelILj256ELj3ELj64EdEEv20rocsparse_direction_iiiNS_24const_host_device_scalarIT2_EEPKiS6_PKS3_S4_S6_S6_S8_S6_PiPS3_21rocsparse_index_base_SB_SB_b,comdat
	.globl	_ZN9rocsparseL39bsrgeam_wf_per_row_multipass_2_3_kernelILj256ELj3ELj64EdEEv20rocsparse_direction_iiiNS_24const_host_device_scalarIT2_EEPKiS6_PKS3_S4_S6_S6_S8_S6_PiPS3_21rocsparse_index_base_SB_SB_b ; -- Begin function _ZN9rocsparseL39bsrgeam_wf_per_row_multipass_2_3_kernelILj256ELj3ELj64EdEEv20rocsparse_direction_iiiNS_24const_host_device_scalarIT2_EEPKiS6_PKS3_S4_S6_S6_S8_S6_PiPS3_21rocsparse_index_base_SB_SB_b
	.p2align	8
	.type	_ZN9rocsparseL39bsrgeam_wf_per_row_multipass_2_3_kernelILj256ELj3ELj64EdEEv20rocsparse_direction_iiiNS_24const_host_device_scalarIT2_EEPKiS6_PKS3_S4_S6_S6_S8_S6_PiPS3_21rocsparse_index_base_SB_SB_b,@function
_ZN9rocsparseL39bsrgeam_wf_per_row_multipass_2_3_kernelILj256ELj3ELj64EdEEv20rocsparse_direction_iiiNS_24const_host_device_scalarIT2_EEPKiS6_PKS3_S4_S6_S6_S8_S6_PiPS3_21rocsparse_index_base_SB_SB_b: ; @_ZN9rocsparseL39bsrgeam_wf_per_row_multipass_2_3_kernelILj256ELj3ELj64EdEEv20rocsparse_direction_iiiNS_24const_host_device_scalarIT2_EEPKiS6_PKS3_S4_S6_S6_S8_S6_PiPS3_21rocsparse_index_base_SB_SB_b
; %bb.0:
	s_clause 0x2
	s_load_b128 s[4:7], s[0:1], 0x68
	s_load_b64 s[8:9], s[0:1], 0x10
	s_load_b64 s[2:3], s[0:1], 0x30
	s_waitcnt lgkmcnt(0)
	s_bitcmp1_b32 s7, 0
	v_dual_mov_b32 v4, s8 :: v_dual_mov_b32 v5, s9
	s_cselect_b32 s7, -1, 0
	s_delay_alu instid0(SALU_CYCLE_1)
	s_and_b32 vcc_lo, exec_lo, s7
	s_xor_b32 s7, s7, -1
	s_cbranch_vccnz .LBB11_2
; %bb.1:
	v_dual_mov_b32 v1, s8 :: v_dual_mov_b32 v2, s9
	flat_load_b64 v[4:5], v[1:2]
.LBB11_2:
	v_dual_mov_b32 v7, s3 :: v_dual_mov_b32 v6, s2
	s_and_not1_b32 vcc_lo, exec_lo, s7
	s_cbranch_vccnz .LBB11_4
; %bb.3:
	v_dual_mov_b32 v1, s2 :: v_dual_mov_b32 v2, s3
	flat_load_b64 v[6:7], v[1:2]
.LBB11_4:
	s_load_b128 s[8:11], s[0:1], 0x0
	v_lshrrev_b32_e32 v12, 6, v0
	s_lshl_b32 s2, s15, 2
	s_delay_alu instid0(VALU_DEP_1) | instid1(SALU_CYCLE_1)
	v_and_or_b32 v1, 0x3fffffc, s2, v12
	s_mov_b32 s2, exec_lo
	s_waitcnt lgkmcnt(0)
	s_delay_alu instid0(VALU_DEP_1)
	v_cmpx_gt_i32_e64 s9, v1
	s_cbranch_execz .LBB11_39
; %bb.5:
	s_clause 0x2
	s_load_b128 s[12:15], s[0:1], 0x18
	s_load_b128 s[16:19], s[0:1], 0x38
	s_load_b64 s[2:3], s[0:1], 0x50
	v_lshlrev_b32_e32 v1, 2, v1
	s_waitcnt lgkmcnt(0)
	s_clause 0x2
	global_load_b64 v[2:3], v1, s[12:13]
	global_load_b64 v[8:9], v1, s[16:17]
	global_load_b32 v13, v1, s[2:3]
	s_waitcnt vmcnt(2)
	v_subrev_nc_u32_e32 v1, s4, v2
	v_cmp_lt_i32_e32 vcc_lo, v2, v3
	v_mov_b32_e32 v2, s10
	s_and_saveexec_b32 s2, vcc_lo
	s_cbranch_execz .LBB11_7
; %bb.6:
	v_ashrrev_i32_e32 v2, 31, v1
	s_delay_alu instid0(VALU_DEP_1) | instskip(NEXT) | instid1(VALU_DEP_1)
	v_lshlrev_b64 v[10:11], 2, v[1:2]
	v_add_co_u32 v10, vcc_lo, s14, v10
	s_delay_alu instid0(VALU_DEP_2)
	v_add_co_ci_u32_e32 v11, vcc_lo, s15, v11, vcc_lo
	global_load_b32 v2, v[10:11], off
	s_waitcnt vmcnt(0)
	v_subrev_nc_u32_e32 v2, s4, v2
.LBB11_7:
	s_or_b32 exec_lo, exec_lo, s2
	s_clause 0x2
	s_load_b128 s[20:23], s[0:1], 0x58
	s_load_b64 s[2:3], s[0:1], 0x28
	s_load_b64 s[12:13], s[0:1], 0x48
	s_waitcnt vmcnt(1)
	v_subrev_nc_u32_e32 v10, s5, v8
	v_cmp_lt_i32_e32 vcc_lo, v8, v9
	v_mov_b32_e32 v8, s10
	s_and_saveexec_b32 s0, vcc_lo
	s_cbranch_execz .LBB11_9
; %bb.8:
	v_ashrrev_i32_e32 v11, 31, v10
	s_delay_alu instid0(VALU_DEP_1) | instskip(NEXT) | instid1(VALU_DEP_1)
	v_lshlrev_b64 v[14:15], 2, v[10:11]
	v_add_co_u32 v14, vcc_lo, s18, v14
	s_delay_alu instid0(VALU_DEP_2)
	v_add_co_ci_u32_e32 v15, vcc_lo, s19, v15, vcc_lo
	global_load_b32 v8, v[14:15], off
	s_waitcnt vmcnt(0)
	v_subrev_nc_u32_e32 v8, s5, v8
.LBB11_9:
	s_or_b32 exec_lo, exec_lo, s0
	s_movk_i32 s0, 0xc0
	v_subrev_nc_u32_e32 v33, s4, v3
	v_and_b32_e32 v3, 63, v0
	v_and_or_b32 v34, v0, s0, 0x4800
	v_mbcnt_lo_u32_b32 v0, -1, 0
	v_min_i32_e32 v49, v8, v2
	v_mul_u32_u24_e32 v11, 0x240, v12
	v_add_nc_u32_e32 v8, v1, v3
	v_xor_b32_e32 v2, 63, v3
	v_or_b32_e32 v1, 32, v0
	v_subrev_nc_u32_e32 v36, s5, v9
	v_xor_b32_e32 v9, 16, v0
	s_waitcnt vmcnt(0)
	v_subrev_nc_u32_e32 v37, s6, v13
	v_lshrrev_b64 v[12:13], v2, -1
	v_cmp_gt_i32_e32 vcc_lo, 32, v1
	v_xor_b32_e32 v13, 1, v0
	v_lshlrev_b32_e32 v35, 3, v11
	v_xor_b32_e32 v11, 2, v0
	s_mov_b32 s16, 0
	v_cndmask_b32_e32 v1, v0, v1, vcc_lo
	v_cmp_gt_i32_e32 vcc_lo, 32, v9
	s_mov_b32 s24, s16
	v_mov_b32_e32 v14, 0
	s_mov_b32 s17, s16
	v_lshlrev_b32_e32 v40, 2, v1
	v_xor_b32_e32 v1, 8, v0
	v_cndmask_b32_e32 v2, v0, v9, vcc_lo
	v_xor_b32_e32 v9, 4, v0
	v_add_nc_u32_e32 v39, s6, v3
	s_mov_b32 s25, s16
	v_cmp_gt_i32_e32 vcc_lo, 32, v1
	v_add_nc_u32_e32 v10, v10, v3
	s_cmp_lg_u32 s8, 0
	v_dual_mov_b32 v17, s24 :: v_dual_add_nc_u32 v46, v34, v3
	v_cndmask_b32_e32 v1, v0, v1, vcc_lo
	v_cmp_gt_i32_e32 vcc_lo, 32, v9
	v_mov_b32_e32 v15, s16
	v_dual_mov_b32 v16, s17 :: v_dual_lshlrev_b32 v41, 2, v2
	s_delay_alu instid0(VALU_DEP_4)
	v_lshlrev_b32_e32 v42, 2, v1
	v_cndmask_b32_e32 v9, v0, v9, vcc_lo
	v_cmp_gt_i32_e32 vcc_lo, 32, v11
	v_mov_b32_e32 v19, v14
	v_mov_b32_e32 v47, 1
	s_cselect_b32 s1, -1, 0
	s_cmp_eq_u32 s8, 0
	v_cndmask_b32_e32 v11, v0, v11, vcc_lo
	v_cmp_gt_i32_e32 vcc_lo, 32, v13
	v_mov_b32_e32 v18, s25
	s_cselect_b32 s6, 8, 24
	s_cselect_b32 s7, 16, 48
	v_lshlrev_b32_e32 v44, 2, v11
	v_cndmask_b32_e32 v0, v0, v13, vcc_lo
	v_mad_u32_u24 v38, 0x48, v3, v35
	v_dual_mov_b32 v20, v14 :: v_dual_lshlrev_b32 v43, 2, v9
	s_cselect_b32 s8, 24, 8
	s_delay_alu instid0(VALU_DEP_3)
	v_lshlrev_b32_e32 v45, 2, v0
	s_cselect_b32 s9, 40, 56
	s_cselect_b32 s11, 48, 16
	;; [unrolled: 1-line block ×3, first 2 shown]
	s_branch .LBB11_11
.LBB11_10:                              ;   in Loop: Header=BB11_11 Depth=1
	s_or_b32 exec_lo, exec_lo, s24
	ds_bpermute_b32 v0, v40, v48
	s_bcnt1_i32_b32 s24, vcc_lo
	s_delay_alu instid0(SALU_CYCLE_1)
	v_add_nc_u32_e32 v37, s24, v37
	s_waitcnt lgkmcnt(0)
	v_min_i32_e32 v0, v0, v48
	ds_bpermute_b32 v1, v41, v0
	s_waitcnt lgkmcnt(0)
	v_min_i32_e32 v0, v1, v0
	ds_bpermute_b32 v1, v42, v0
	s_waitcnt lgkmcnt(0)
	v_min_i32_e32 v0, v1, v0
	ds_bpermute_b32 v1, v43, v0
	s_waitcnt lgkmcnt(0)
	v_min_i32_e32 v0, v1, v0
	ds_bpermute_b32 v1, v44, v0
	s_waitcnt lgkmcnt(0)
	v_min_i32_e32 v0, v1, v0
	ds_bpermute_b32 v1, v45, v0
	s_waitcnt lgkmcnt(0)
	v_min_i32_e32 v49, v1, v0
	s_delay_alu instid0(VALU_DEP_1) | instskip(NEXT) | instid1(VALU_DEP_1)
	v_cmp_le_i32_e64 s0, s10, v49
	s_or_b32 s16, s0, s16
	s_delay_alu instid0(SALU_CYCLE_1)
	s_and_not1_b32 exec_lo, exec_lo, s16
	s_cbranch_execz .LBB11_39
.LBB11_11:                              ; =>This Loop Header: Depth=1
                                        ;     Child Loop BB11_14 Depth 2
                                        ;     Child Loop BB11_27 Depth 2
	v_mov_b32_e32 v48, s10
	s_mov_b32 s24, exec_lo
	ds_store_2addr_b64 v38, v[15:16], v[17:18] offset1:1
	ds_store_2addr_b64 v38, v[15:16], v[17:18] offset0:2 offset1:3
	ds_store_2addr_b64 v38, v[15:16], v[17:18] offset0:4 offset1:5
	;; [unrolled: 1-line block ×3, first 2 shown]
	ds_store_b8 v46, v14
	ds_store_b64 v38, v[19:20] offset:64
	s_waitcnt lgkmcnt(0)
	buffer_gl0_inv
	v_cmpx_lt_i32_e64 v8, v33
	s_cbranch_execz .LBB11_24
; %bb.12:                               ;   in Loop: Header=BB11_11 Depth=1
	v_mad_u64_u32 v[0:1], null, v8, 9, 8
	v_mov_b32_e32 v48, s10
	s_mov_b32 s25, 0
	s_branch .LBB11_14
.LBB11_13:                              ;   in Loop: Header=BB11_14 Depth=2
	s_or_b32 exec_lo, exec_lo, s27
	s_delay_alu instid0(SALU_CYCLE_1) | instskip(NEXT) | instid1(SALU_CYCLE_1)
	s_and_b32 s0, exec_lo, s26
	s_or_b32 s25, s0, s25
	s_delay_alu instid0(SALU_CYCLE_1)
	s_and_not1_b32 exec_lo, exec_lo, s25
	s_cbranch_execz .LBB11_23
.LBB11_14:                              ;   Parent Loop BB11_11 Depth=1
                                        ; =>  This Inner Loop Header: Depth=2
	v_ashrrev_i32_e32 v9, 31, v8
	s_mov_b32 s26, exec_lo
	s_delay_alu instid0(VALU_DEP_1) | instskip(NEXT) | instid1(VALU_DEP_1)
	v_lshlrev_b64 v[1:2], 2, v[8:9]
	v_add_co_u32 v1, vcc_lo, s14, v1
	s_delay_alu instid0(VALU_DEP_2) | instskip(SKIP_3) | instid1(VALU_DEP_1)
	v_add_co_ci_u32_e32 v2, vcc_lo, s15, v2, vcc_lo
	global_load_b32 v1, v[1:2], off
	s_waitcnt vmcnt(0)
	v_subrev_nc_u32_e32 v2, s4, v1
	v_sub_nc_u32_e32 v1, v2, v49
	s_delay_alu instid0(VALU_DEP_1)
	v_cmp_gt_u32_e64 s0, 64, v1
	v_cmpx_lt_u32_e32 63, v1
	s_xor_b32 s26, exec_lo, s26
; %bb.15:                               ;   in Loop: Header=BB11_14 Depth=2
	v_min_i32_e32 v48, v2, v48
                                        ; implicit-def: $vgpr1
; %bb.16:                               ;   in Loop: Header=BB11_14 Depth=2
	s_and_not1_saveexec_b32 s26, s26
	s_cbranch_execz .LBB11_21
; %bb.17:                               ;   in Loop: Header=BB11_14 Depth=2
	v_add_nc_u32_e32 v13, -8, v0
	v_mul_lo_u32 v9, 0x48, v1
	v_add_nc_u32_e32 v1, v34, v1
	v_add_nc_u32_e32 v23, -2, v0
	v_add_nc_u32_e32 v29, -7, v0
	v_lshlrev_b64 v[2:3], 3, v[13:14]
	v_add_nc_u32_e32 v13, -4, v0
	v_add_nc_u32_e32 v21, -1, v0
	;; [unrolled: 1-line block ×3, first 2 shown]
	v_add_nc_u32_e32 v9, v35, v9
	v_add_nc_u32_e32 v25, -3, v0
	v_add_co_u32 v2, vcc_lo, s2, v2
	v_add_co_ci_u32_e32 v3, vcc_lo, s3, v3, vcc_lo
	global_load_b64 v[2:3], v[2:3], off
	s_waitcnt vmcnt(0)
	v_mul_f64 v[30:31], v[4:5], v[2:3]
	v_lshlrev_b64 v[2:3], 3, v[13:14]
	v_add_nc_u32_e32 v13, -5, v0
	ds_store_b8 v1, v47
	ds_store_b64 v9, v[30:31]
	v_add_co_u32 v2, vcc_lo, s2, v2
	v_add_co_ci_u32_e32 v3, vcc_lo, s3, v3, vcc_lo
	s_and_not1_b32 vcc_lo, exec_lo, s1
	s_cbranch_vccnz .LBB11_19
; %bb.18:                               ;   in Loop: Header=BB11_14 Depth=2
	v_mov_b32_e32 v24, v14
	v_lshlrev_b64 v[31:32], 3, v[13:14]
	v_mov_b32_e32 v30, v14
	v_mov_b32_e32 v22, v14
	;; [unrolled: 1-line block ×3, first 2 shown]
	v_lshlrev_b64 v[50:51], 3, v[23:24]
	v_mov_b32_e32 v26, v14
	v_lshlrev_b64 v[52:53], 3, v[29:30]
	v_add_co_u32 v30, vcc_lo, s2, v31
	v_add_co_ci_u32_e32 v31, vcc_lo, s3, v32, vcc_lo
	v_add_co_u32 v50, vcc_lo, s2, v50
	v_lshlrev_b64 v[54:55], 3, v[21:22]
	v_add_co_ci_u32_e32 v51, vcc_lo, s3, v51, vcc_lo
	v_add_co_u32 v52, vcc_lo, s2, v52
	v_lshlrev_b64 v[56:57], 3, v[27:28]
	v_mov_b32_e32 v1, v14
	v_add_co_ci_u32_e32 v53, vcc_lo, s3, v53, vcc_lo
	v_add_co_u32 v54, vcc_lo, s2, v54
	v_lshlrev_b64 v[58:59], 3, v[25:26]
	v_add_co_ci_u32_e32 v55, vcc_lo, s3, v55, vcc_lo
	v_add_co_u32 v56, vcc_lo, s2, v56
	v_lshlrev_b64 v[60:61], 3, v[0:1]
	v_add_co_ci_u32_e32 v57, vcc_lo, s3, v57, vcc_lo
	v_add_co_u32 v58, vcc_lo, s2, v58
	v_add_co_ci_u32_e32 v59, vcc_lo, s3, v59, vcc_lo
	s_delay_alu instid0(VALU_DEP_4)
	v_add_co_u32 v60, vcc_lo, s2, v60
	s_clause 0x2
	global_load_b64 v[30:31], v[30:31], off
	global_load_b64 v[50:51], v[50:51], off
	;; [unrolled: 1-line block ×3, first 2 shown]
	v_add_co_ci_u32_e32 v61, vcc_lo, s3, v61, vcc_lo
	s_clause 0x4
	global_load_b64 v[62:63], v[2:3], off
	global_load_b64 v[54:55], v[54:55], off
	;; [unrolled: 1-line block ×5, first 2 shown]
	s_waitcnt vmcnt(7)
	v_mul_f64 v[30:31], v[4:5], v[30:31]
	s_waitcnt vmcnt(6)
	v_mul_f64 v[50:51], v[4:5], v[50:51]
	;; [unrolled: 2-line block ×8, first 2 shown]
	ds_store_2addr_b64 v9, v[30:31], v[50:51] offset0:1 offset1:2
	ds_store_2addr_b64 v9, v[52:53], v[62:63] offset0:3 offset1:4
	;; [unrolled: 1-line block ×4, first 2 shown]
	s_cbranch_execz .LBB11_20
	s_branch .LBB11_21
.LBB11_19:                              ;   in Loop: Header=BB11_14 Depth=2
.LBB11_20:                              ;   in Loop: Header=BB11_14 Depth=2
	v_mov_b32_e32 v30, v14
	v_mov_b32_e32 v28, v14
	v_lshlrev_b64 v[31:32], 3, v[13:14]
	v_mov_b32_e32 v24, v14
	v_mov_b32_e32 v22, v14
	v_lshlrev_b64 v[29:30], 3, v[29:30]
	v_lshlrev_b64 v[26:27], 3, v[27:28]
	v_mov_b32_e32 v1, v14
	v_lshlrev_b64 v[23:24], 3, v[23:24]
	v_lshlrev_b64 v[21:22], 3, v[21:22]
	v_add_co_u32 v28, vcc_lo, s2, v29
	v_add_co_ci_u32_e32 v29, vcc_lo, s3, v30, vcc_lo
	v_add_co_u32 v50, vcc_lo, s2, v26
	v_mov_b32_e32 v26, v14
	v_add_co_ci_u32_e32 v51, vcc_lo, s3, v27, vcc_lo
	v_add_co_u32 v30, vcc_lo, s2, v31
	s_delay_alu instid0(VALU_DEP_3)
	v_lshlrev_b64 v[25:26], 3, v[25:26]
	v_add_co_ci_u32_e32 v31, vcc_lo, s3, v32, vcc_lo
	s_clause 0x2
	global_load_b64 v[27:28], v[28:29], off
	global_load_b64 v[50:51], v[50:51], off
	;; [unrolled: 1-line block ×3, first 2 shown]
	v_lshlrev_b64 v[31:32], 3, v[0:1]
	v_add_co_u32 v25, vcc_lo, s2, v25
	v_add_co_ci_u32_e32 v26, vcc_lo, s3, v26, vcc_lo
	v_add_co_u32 v23, vcc_lo, s2, v23
	v_add_co_ci_u32_e32 v24, vcc_lo, s3, v24, vcc_lo
	;; [unrolled: 2-line block ×4, first 2 shown]
	s_clause 0x4
	global_load_b64 v[1:2], v[2:3], off
	global_load_b64 v[25:26], v[25:26], off
	global_load_b64 v[23:24], v[23:24], off
	global_load_b64 v[21:22], v[21:22], off
	global_load_b64 v[31:32], v[31:32], off
	s_waitcnt vmcnt(7)
	v_mul_f64 v[27:28], v[4:5], v[27:28]
	s_waitcnt vmcnt(6)
	v_mul_f64 v[50:51], v[4:5], v[50:51]
	;; [unrolled: 2-line block ×8, first 2 shown]
	ds_store_2addr_b64 v9, v[27:28], v[50:51] offset0:1 offset1:2
	ds_store_2addr_b64 v9, v[29:30], v[1:2] offset0:3 offset1:4
	;; [unrolled: 1-line block ×4, first 2 shown]
.LBB11_21:                              ;   in Loop: Header=BB11_14 Depth=2
	s_or_b32 exec_lo, exec_lo, s26
	s_mov_b32 s26, -1
	s_and_saveexec_b32 s27, s0
	s_cbranch_execz .LBB11_13
; %bb.22:                               ;   in Loop: Header=BB11_14 Depth=2
	v_add_nc_u32_e32 v8, 64, v8
	v_add_nc_u32_e32 v0, 0x240, v0
	s_delay_alu instid0(VALU_DEP_2)
	v_cmp_ge_i32_e32 vcc_lo, v8, v33
	s_or_not1_b32 s26, vcc_lo, exec_lo
	s_branch .LBB11_13
.LBB11_23:                              ;   in Loop: Header=BB11_11 Depth=1
	s_or_b32 exec_lo, exec_lo, s25
.LBB11_24:                              ;   in Loop: Header=BB11_11 Depth=1
	s_delay_alu instid0(SALU_CYCLE_1) | instskip(NEXT) | instid1(SALU_CYCLE_1)
	s_or_b32 exec_lo, exec_lo, s24
	s_mov_b32 s24, exec_lo
	s_waitcnt lgkmcnt(0)
	buffer_gl0_inv
	v_cmpx_lt_i32_e64 v10, v36
	s_cbranch_execz .LBB11_37
; %bb.25:                               ;   in Loop: Header=BB11_11 Depth=1
	v_mad_u64_u32 v[21:22], null, v10, 9, 8
	s_mov_b32 s25, 0
	s_branch .LBB11_27
.LBB11_26:                              ;   in Loop: Header=BB11_27 Depth=2
	s_or_b32 exec_lo, exec_lo, s27
	s_delay_alu instid0(SALU_CYCLE_1) | instskip(NEXT) | instid1(SALU_CYCLE_1)
	s_and_b32 s0, exec_lo, s26
	s_or_b32 s25, s0, s25
	s_delay_alu instid0(SALU_CYCLE_1)
	s_and_not1_b32 exec_lo, exec_lo, s25
	s_cbranch_execz .LBB11_36
.LBB11_27:                              ;   Parent Loop BB11_11 Depth=1
                                        ; =>  This Inner Loop Header: Depth=2
	v_ashrrev_i32_e32 v11, 31, v10
	s_mov_b32 s26, exec_lo
	s_delay_alu instid0(VALU_DEP_1) | instskip(NEXT) | instid1(VALU_DEP_1)
	v_lshlrev_b64 v[0:1], 2, v[10:11]
	v_add_co_u32 v0, vcc_lo, s18, v0
	s_delay_alu instid0(VALU_DEP_2) | instskip(SKIP_3) | instid1(VALU_DEP_1)
	v_add_co_ci_u32_e32 v1, vcc_lo, s19, v1, vcc_lo
	global_load_b32 v0, v[0:1], off
	s_waitcnt vmcnt(0)
	v_subrev_nc_u32_e32 v0, s5, v0
	v_sub_nc_u32_e32 v11, v0, v49
	s_delay_alu instid0(VALU_DEP_1)
	v_cmp_gt_u32_e64 s0, 64, v11
	v_cmpx_lt_u32_e32 63, v11
	s_xor_b32 s26, exec_lo, s26
; %bb.28:                               ;   in Loop: Header=BB11_27 Depth=2
	v_min_i32_e32 v48, v0, v48
                                        ; implicit-def: $vgpr11
; %bb.29:                               ;   in Loop: Header=BB11_27 Depth=2
	s_and_not1_saveexec_b32 s26, s26
	s_cbranch_execz .LBB11_34
; %bb.30:                               ;   in Loop: Header=BB11_27 Depth=2
	v_add_nc_u32_e32 v13, -8, v21
	v_add_nc_u32_e32 v25, -2, v21
	;; [unrolled: 1-line block ×5, first 2 shown]
	v_lshlrev_b64 v[0:1], 3, v[13:14]
	v_add_nc_u32_e32 v13, -4, v21
	s_delay_alu instid0(VALU_DEP_2) | instskip(NEXT) | instid1(VALU_DEP_3)
	v_add_co_u32 v0, vcc_lo, s12, v0
	v_add_co_ci_u32_e32 v1, vcc_lo, s13, v1, vcc_lo
	global_load_b64 v[22:23], v[0:1], off
	v_mul_lo_u32 v0, 0x48, v11
	v_add_nc_u32_e32 v11, v34, v11
	s_delay_alu instid0(VALU_DEP_2)
	v_add_nc_u32_e32 v9, v35, v0
	ds_load_2addr_b64 v[0:3], v9 offset1:1
	s_waitcnt vmcnt(0) lgkmcnt(0)
	v_fma_f64 v[50:51], v[6:7], v[22:23], v[0:1]
	v_lshlrev_b64 v[0:1], 3, v[13:14]
	v_add_nc_u32_e32 v13, -5, v21
	ds_store_b8 v11, v47
	ds_store_b64 v9, v[50:51]
	v_add_co_u32 v23, vcc_lo, s12, v0
	v_add_co_ci_u32_e32 v24, vcc_lo, s13, v1, vcc_lo
	v_add_nc_u32_e32 v0, -1, v21
	s_and_not1_b32 vcc_lo, exec_lo, s1
	s_cbranch_vccnz .LBB11_32
; %bb.31:                               ;   in Loop: Header=BB11_27 Depth=2
	v_mov_b32_e32 v26, v14
	v_lshlrev_b64 v[50:51], 3, v[13:14]
	v_mov_b32_e32 v32, v14
	v_mov_b32_e32 v1, v14
	;; [unrolled: 1-line block ×3, first 2 shown]
	v_lshlrev_b64 v[52:53], 3, v[25:26]
	v_mov_b32_e32 v28, v14
	v_lshlrev_b64 v[54:55], 3, v[31:32]
	v_add_co_u32 v50, vcc_lo, s12, v50
	v_add_co_ci_u32_e32 v51, vcc_lo, s13, v51, vcc_lo
	v_add_co_u32 v52, vcc_lo, s12, v52
	v_lshlrev_b64 v[56:57], 3, v[0:1]
	v_add_co_ci_u32_e32 v53, vcc_lo, s13, v53, vcc_lo
	v_add_co_u32 v54, vcc_lo, s12, v54
	v_lshlrev_b64 v[58:59], 3, v[29:30]
	v_mov_b32_e32 v22, v14
	v_add_co_ci_u32_e32 v55, vcc_lo, s13, v55, vcc_lo
	v_add_co_u32 v56, vcc_lo, s12, v56
	v_lshlrev_b64 v[60:61], 3, v[27:28]
	v_add_co_ci_u32_e32 v57, vcc_lo, s13, v57, vcc_lo
	v_add_co_u32 v58, vcc_lo, s12, v58
	v_lshlrev_b64 v[64:65], 3, v[21:22]
	v_add_co_ci_u32_e32 v59, vcc_lo, s13, v59, vcc_lo
	v_add_co_u32 v60, vcc_lo, s12, v60
	v_add_co_ci_u32_e32 v61, vcc_lo, s13, v61, vcc_lo
	global_load_b64 v[62:63], v[23:24], off
	v_add_co_u32 v64, vcc_lo, s12, v64
	v_add_co_ci_u32_e32 v65, vcc_lo, s13, v65, vcc_lo
	s_clause 0x6
	global_load_b64 v[66:67], v[50:51], off
	global_load_b64 v[68:69], v[52:53], off
	global_load_b64 v[70:71], v[54:55], off
	global_load_b64 v[72:73], v[56:57], off
	global_load_b64 v[74:75], v[58:59], off
	global_load_b64 v[76:77], v[60:61], off
	global_load_b64 v[64:65], v[64:65], off
	ds_load_2addr_b64 v[50:53], v9 offset0:4 offset1:5
	ds_load_2addr_b64 v[54:57], v9 offset0:2 offset1:3
	;; [unrolled: 1-line block ×3, first 2 shown]
	ds_load_b64 v[78:79], v9 offset:64
	s_waitcnt vmcnt(7) lgkmcnt(3)
	v_fma_f64 v[50:51], v[6:7], v[62:63], v[50:51]
	s_waitcnt vmcnt(6)
	v_fma_f64 v[62:63], v[6:7], v[66:67], v[2:3]
	s_waitcnt vmcnt(5) lgkmcnt(2)
	v_fma_f64 v[54:55], v[6:7], v[68:69], v[54:55]
	s_waitcnt vmcnt(4)
	v_fma_f64 v[56:57], v[6:7], v[70:71], v[56:57]
	s_waitcnt vmcnt(3)
	v_fma_f64 v[52:53], v[6:7], v[72:73], v[52:53]
	s_waitcnt vmcnt(2) lgkmcnt(1)
	v_fma_f64 v[58:59], v[6:7], v[74:75], v[58:59]
	s_waitcnt vmcnt(1)
	v_fma_f64 v[60:61], v[6:7], v[76:77], v[60:61]
	s_waitcnt vmcnt(0) lgkmcnt(0)
	v_fma_f64 v[64:65], v[6:7], v[64:65], v[78:79]
	ds_store_2addr_b64 v9, v[62:63], v[54:55] offset0:1 offset1:2
	ds_store_2addr_b64 v9, v[56:57], v[50:51] offset0:3 offset1:4
	;; [unrolled: 1-line block ×4, first 2 shown]
	s_cbranch_execz .LBB11_33
	s_branch .LBB11_34
.LBB11_32:                              ;   in Loop: Header=BB11_27 Depth=2
.LBB11_33:                              ;   in Loop: Header=BB11_27 Depth=2
	v_mov_b32_e32 v32, v14
	v_mov_b32_e32 v30, v14
	;; [unrolled: 1-line block ×3, first 2 shown]
	v_lshlrev_b64 v[50:51], 3, v[13:14]
	v_mov_b32_e32 v26, v14
	v_lshlrev_b64 v[31:32], 3, v[31:32]
	v_lshlrev_b64 v[29:30], 3, v[29:30]
	;; [unrolled: 1-line block ×3, first 2 shown]
	v_mov_b32_e32 v1, v14
	global_load_b64 v[54:55], v[23:24], off
	v_lshlrev_b64 v[23:24], 3, v[25:26]
	v_add_co_u32 v31, vcc_lo, s12, v31
	v_add_co_ci_u32_e32 v32, vcc_lo, s13, v32, vcc_lo
	v_add_co_u32 v29, vcc_lo, s12, v29
	v_add_co_ci_u32_e32 v30, vcc_lo, s13, v30, vcc_lo
	v_add_co_u32 v50, vcc_lo, s12, v50
	v_mov_b32_e32 v22, v14
	v_add_co_ci_u32_e32 v51, vcc_lo, s13, v51, vcc_lo
	v_add_co_u32 v25, vcc_lo, s12, v27
	v_lshlrev_b64 v[0:1], 3, v[0:1]
	v_add_co_ci_u32_e32 v26, vcc_lo, s13, v28, vcc_lo
	v_add_co_u32 v23, vcc_lo, s12, v23
	v_lshlrev_b64 v[27:28], 3, v[21:22]
	v_add_co_ci_u32_e32 v24, vcc_lo, s13, v24, vcc_lo
	v_add_co_u32 v0, vcc_lo, s12, v0
	v_add_co_ci_u32_e32 v1, vcc_lo, s13, v1, vcc_lo
	s_delay_alu instid0(VALU_DEP_4)
	v_add_co_u32 v27, vcc_lo, s12, v27
	v_add_co_ci_u32_e32 v28, vcc_lo, s13, v28, vcc_lo
	s_clause 0x6
	global_load_b64 v[31:32], v[31:32], off
	global_load_b64 v[56:57], v[29:30], off
	;; [unrolled: 1-line block ×7, first 2 shown]
	ds_load_2addr_b64 v[22:25], v9 offset0:4 offset1:5
	ds_load_2addr_b64 v[26:29], v9 offset0:2 offset1:3
	ds_load_2addr_b64 v[50:53], v9 offset0:6 offset1:7
	ds_load_b64 v[66:67], v9 offset:64
	s_waitcnt vmcnt(7) lgkmcnt(3)
	v_fma_f64 v[22:23], v[6:7], v[54:55], v[22:23]
	s_waitcnt vmcnt(6)
	v_fma_f64 v[2:3], v[6:7], v[31:32], v[2:3]
	s_waitcnt vmcnt(5) lgkmcnt(2)
	v_fma_f64 v[26:27], v[6:7], v[56:57], v[26:27]
	s_waitcnt vmcnt(4)
	v_fma_f64 v[28:29], v[6:7], v[58:59], v[28:29]
	s_waitcnt vmcnt(3)
	v_fma_f64 v[24:25], v[6:7], v[60:61], v[24:25]
	s_waitcnt vmcnt(2) lgkmcnt(1)
	v_fma_f64 v[30:31], v[6:7], v[62:63], v[50:51]
	s_waitcnt vmcnt(1)
	v_fma_f64 v[0:1], v[6:7], v[0:1], v[52:53]
	s_waitcnt vmcnt(0) lgkmcnt(0)
	v_fma_f64 v[50:51], v[6:7], v[64:65], v[66:67]
	ds_store_2addr_b64 v9, v[2:3], v[26:27] offset0:1 offset1:2
	ds_store_2addr_b64 v9, v[28:29], v[22:23] offset0:3 offset1:4
	;; [unrolled: 1-line block ×4, first 2 shown]
.LBB11_34:                              ;   in Loop: Header=BB11_27 Depth=2
	s_or_b32 exec_lo, exec_lo, s26
	s_mov_b32 s26, -1
	s_and_saveexec_b32 s27, s0
	s_cbranch_execz .LBB11_26
; %bb.35:                               ;   in Loop: Header=BB11_27 Depth=2
	v_add_nc_u32_e32 v10, 64, v10
	v_add_nc_u32_e32 v21, 0x240, v21
	s_delay_alu instid0(VALU_DEP_2)
	v_cmp_ge_i32_e32 vcc_lo, v10, v36
	s_or_not1_b32 s26, vcc_lo, exec_lo
	s_branch .LBB11_26
.LBB11_36:                              ;   in Loop: Header=BB11_11 Depth=1
	s_or_b32 exec_lo, exec_lo, s25
.LBB11_37:                              ;   in Loop: Header=BB11_11 Depth=1
	s_delay_alu instid0(SALU_CYCLE_1)
	s_or_b32 exec_lo, exec_lo, s24
	s_waitcnt lgkmcnt(0)
	buffer_gl0_inv
	ds_load_u8 v0, v46
	s_mov_b32 s24, exec_lo
	s_waitcnt lgkmcnt(0)
	v_and_b32_e32 v1, 1, v0
	v_cmp_ne_u16_e32 vcc_lo, 0, v0
	s_delay_alu instid0(VALU_DEP_2)
	v_cmpx_eq_u32_e32 1, v1
	s_cbranch_execz .LBB11_10
; %bb.38:                               ;   in Loop: Header=BB11_11 Depth=1
	v_dual_mov_b32 v23, v14 :: v_dual_and_b32 v0, vcc_lo, v12
	v_add_nc_u32_e32 v9, v39, v49
	v_add_nc_u32_e32 v11, s7, v38
	;; [unrolled: 1-line block ×3, first 2 shown]
	s_delay_alu instid0(VALU_DEP_4) | instskip(SKIP_3) | instid1(VALU_DEP_4)
	v_bcnt_u32_b32 v0, v0, 0
	v_add_nc_u32_e32 v63, s11, v38
	v_dual_mov_b32 v50, v14 :: v_dual_add_nc_u32 v65, s17, v38
	v_mov_b32_e32 v52, v14
	v_add3_u32 v21, v37, v0, -1
	ds_load_2addr_b64 v[0:3], v38 offset1:4
	v_mov_b32_e32 v54, v14
	v_ashrrev_i32_e32 v22, 31, v21
	v_lshl_add_u32 v13, v21, 3, v21
	v_mov_b32_e32 v25, v14
	v_mov_b32_e32 v27, v14
	s_delay_alu instid0(VALU_DEP_4) | instskip(NEXT) | instid1(VALU_DEP_4)
	v_lshlrev_b64 v[28:29], 2, v[21:22]
	v_add_nc_u32_e32 v24, 2, v13
	v_add_nc_u32_e32 v22, 1, v13
	v_lshlrev_b64 v[30:31], 3, v[13:14]
	v_add_nc_u32_e32 v26, 3, v13
	v_add_nc_u32_e32 v21, 4, v13
	v_add_co_u32 v28, s0, s20, v28
	v_lshlrev_b64 v[22:23], 3, v[22:23]
	v_add_co_ci_u32_e64 v29, s0, s21, v29, s0
	v_lshlrev_b64 v[24:25], 3, v[24:25]
	v_add_co_u32 v30, s0, s22, v30
	s_delay_alu instid0(VALU_DEP_1) | instskip(SKIP_3) | instid1(VALU_DEP_1)
	v_add_co_ci_u32_e64 v31, s0, s23, v31, s0
	v_lshlrev_b64 v[26:27], 3, v[26:27]
	global_store_b32 v[28:29], v9, off
	v_add_co_u32 v28, s0, s22, v22
	v_add_co_ci_u32_e64 v29, s0, s23, v23, s0
	v_add_co_u32 v23, s0, s22, v24
	s_delay_alu instid0(VALU_DEP_1)
	v_add_co_ci_u32_e64 v24, s0, s23, v25, s0
	v_mov_b32_e32 v22, v14
	v_add_co_u32 v25, s0, s22, v26
	v_add_nc_u32_e32 v9, s6, v38
	v_add_co_ci_u32_e64 v26, s0, s23, v27, s0
	v_add_nc_u32_e32 v27, s8, v38
	v_add_nc_u32_e32 v49, 5, v13
	v_lshlrev_b64 v[21:22], 3, v[21:22]
	ds_load_b64 v[55:56], v9
	ds_load_b64 v[57:58], v11
	;; [unrolled: 1-line block ×6, first 2 shown]
	ds_load_b64 v[67:68], v38 offset:64
	v_add_nc_u32_e32 v51, 6, v13
	v_add_nc_u32_e32 v53, 7, v13
	v_lshlrev_b64 v[49:50], 3, v[49:50]
	v_add_nc_u32_e32 v13, 8, v13
	v_add_co_u32 v21, s0, s22, v21
	v_lshlrev_b64 v[51:52], 3, v[51:52]
	v_add_co_ci_u32_e64 v22, s0, s23, v22, s0
	v_add_co_u32 v49, s0, s22, v49
	v_lshlrev_b64 v[53:54], 3, v[53:54]
	v_add_co_ci_u32_e64 v50, s0, s23, v50, s0
	;; [unrolled: 3-line block ×3, first 2 shown]
	v_add_co_u32 v53, s0, s22, v53
	s_delay_alu instid0(VALU_DEP_1) | instskip(NEXT) | instid1(VALU_DEP_4)
	v_add_co_ci_u32_e64 v54, s0, s23, v54, s0
	v_add_co_u32 v69, s0, s22, v69
	s_delay_alu instid0(VALU_DEP_1)
	v_add_co_ci_u32_e64 v70, s0, s23, v70, s0
	s_waitcnt lgkmcnt(7)
	global_store_b64 v[30:31], v[0:1], off
	s_waitcnt lgkmcnt(6)
	global_store_b64 v[28:29], v[55:56], off
	;; [unrolled: 2-line block ×3, first 2 shown]
	s_waitcnt lgkmcnt(4)
	s_clause 0x1
	global_store_b64 v[25:26], v[59:60], off
	global_store_b64 v[21:22], v[2:3], off
	s_waitcnt lgkmcnt(3)
	global_store_b64 v[49:50], v[61:62], off
	s_waitcnt lgkmcnt(2)
	;; [unrolled: 2-line block ×4, first 2 shown]
	global_store_b64 v[69:70], v[67:68], off
	s_branch .LBB11_10
.LBB11_39:
	s_nop 0
	s_sendmsg sendmsg(MSG_DEALLOC_VGPRS)
	s_endpgm
	.section	.rodata,"a",@progbits
	.p2align	6, 0x0
	.amdhsa_kernel _ZN9rocsparseL39bsrgeam_wf_per_row_multipass_2_3_kernelILj256ELj3ELj64EdEEv20rocsparse_direction_iiiNS_24const_host_device_scalarIT2_EEPKiS6_PKS3_S4_S6_S6_S8_S6_PiPS3_21rocsparse_index_base_SB_SB_b
		.amdhsa_group_segment_fixed_size 18688
		.amdhsa_private_segment_fixed_size 0
		.amdhsa_kernarg_size 120
		.amdhsa_user_sgpr_count 15
		.amdhsa_user_sgpr_dispatch_ptr 0
		.amdhsa_user_sgpr_queue_ptr 0
		.amdhsa_user_sgpr_kernarg_segment_ptr 1
		.amdhsa_user_sgpr_dispatch_id 0
		.amdhsa_user_sgpr_private_segment_size 0
		.amdhsa_wavefront_size32 1
		.amdhsa_uses_dynamic_stack 0
		.amdhsa_enable_private_segment 0
		.amdhsa_system_sgpr_workgroup_id_x 1
		.amdhsa_system_sgpr_workgroup_id_y 0
		.amdhsa_system_sgpr_workgroup_id_z 0
		.amdhsa_system_sgpr_workgroup_info 0
		.amdhsa_system_vgpr_workitem_id 0
		.amdhsa_next_free_vgpr 80
		.amdhsa_next_free_sgpr 28
		.amdhsa_reserve_vcc 1
		.amdhsa_float_round_mode_32 0
		.amdhsa_float_round_mode_16_64 0
		.amdhsa_float_denorm_mode_32 3
		.amdhsa_float_denorm_mode_16_64 3
		.amdhsa_dx10_clamp 1
		.amdhsa_ieee_mode 1
		.amdhsa_fp16_overflow 0
		.amdhsa_workgroup_processor_mode 1
		.amdhsa_memory_ordered 1
		.amdhsa_forward_progress 0
		.amdhsa_shared_vgpr_count 0
		.amdhsa_exception_fp_ieee_invalid_op 0
		.amdhsa_exception_fp_denorm_src 0
		.amdhsa_exception_fp_ieee_div_zero 0
		.amdhsa_exception_fp_ieee_overflow 0
		.amdhsa_exception_fp_ieee_underflow 0
		.amdhsa_exception_fp_ieee_inexact 0
		.amdhsa_exception_int_div_zero 0
	.end_amdhsa_kernel
	.section	.text._ZN9rocsparseL39bsrgeam_wf_per_row_multipass_2_3_kernelILj256ELj3ELj64EdEEv20rocsparse_direction_iiiNS_24const_host_device_scalarIT2_EEPKiS6_PKS3_S4_S6_S6_S8_S6_PiPS3_21rocsparse_index_base_SB_SB_b,"axG",@progbits,_ZN9rocsparseL39bsrgeam_wf_per_row_multipass_2_3_kernelILj256ELj3ELj64EdEEv20rocsparse_direction_iiiNS_24const_host_device_scalarIT2_EEPKiS6_PKS3_S4_S6_S6_S8_S6_PiPS3_21rocsparse_index_base_SB_SB_b,comdat
.Lfunc_end11:
	.size	_ZN9rocsparseL39bsrgeam_wf_per_row_multipass_2_3_kernelILj256ELj3ELj64EdEEv20rocsparse_direction_iiiNS_24const_host_device_scalarIT2_EEPKiS6_PKS3_S4_S6_S6_S8_S6_PiPS3_21rocsparse_index_base_SB_SB_b, .Lfunc_end11-_ZN9rocsparseL39bsrgeam_wf_per_row_multipass_2_3_kernelILj256ELj3ELj64EdEEv20rocsparse_direction_iiiNS_24const_host_device_scalarIT2_EEPKiS6_PKS3_S4_S6_S6_S8_S6_PiPS3_21rocsparse_index_base_SB_SB_b
                                        ; -- End function
	.section	.AMDGPU.csdata,"",@progbits
; Kernel info:
; codeLenInByte = 3788
; NumSgprs: 30
; NumVgprs: 80
; ScratchSize: 0
; MemoryBound: 0
; FloatMode: 240
; IeeeMode: 1
; LDSByteSize: 18688 bytes/workgroup (compile time only)
; SGPRBlocks: 3
; VGPRBlocks: 9
; NumSGPRsForWavesPerEU: 30
; NumVGPRsForWavesPerEU: 80
; Occupancy: 14
; WaveLimiterHint : 1
; COMPUTE_PGM_RSRC2:SCRATCH_EN: 0
; COMPUTE_PGM_RSRC2:USER_SGPR: 15
; COMPUTE_PGM_RSRC2:TRAP_HANDLER: 0
; COMPUTE_PGM_RSRC2:TGID_X_EN: 1
; COMPUTE_PGM_RSRC2:TGID_Y_EN: 0
; COMPUTE_PGM_RSRC2:TGID_Z_EN: 0
; COMPUTE_PGM_RSRC2:TIDIG_COMP_CNT: 0
	.section	.text._ZN9rocsparseL35bsrgeam_wf_per_row_multipass_kernelILj64ELj4EdEEv20rocsparse_direction_iiiNS_24const_host_device_scalarIT1_EEPKiS6_PKS3_S4_S6_S6_S8_S6_PiPS3_21rocsparse_index_base_SB_SB_b,"axG",@progbits,_ZN9rocsparseL35bsrgeam_wf_per_row_multipass_kernelILj64ELj4EdEEv20rocsparse_direction_iiiNS_24const_host_device_scalarIT1_EEPKiS6_PKS3_S4_S6_S6_S8_S6_PiPS3_21rocsparse_index_base_SB_SB_b,comdat
	.globl	_ZN9rocsparseL35bsrgeam_wf_per_row_multipass_kernelILj64ELj4EdEEv20rocsparse_direction_iiiNS_24const_host_device_scalarIT1_EEPKiS6_PKS3_S4_S6_S6_S8_S6_PiPS3_21rocsparse_index_base_SB_SB_b ; -- Begin function _ZN9rocsparseL35bsrgeam_wf_per_row_multipass_kernelILj64ELj4EdEEv20rocsparse_direction_iiiNS_24const_host_device_scalarIT1_EEPKiS6_PKS3_S4_S6_S6_S8_S6_PiPS3_21rocsparse_index_base_SB_SB_b
	.p2align	8
	.type	_ZN9rocsparseL35bsrgeam_wf_per_row_multipass_kernelILj64ELj4EdEEv20rocsparse_direction_iiiNS_24const_host_device_scalarIT1_EEPKiS6_PKS3_S4_S6_S6_S8_S6_PiPS3_21rocsparse_index_base_SB_SB_b,@function
_ZN9rocsparseL35bsrgeam_wf_per_row_multipass_kernelILj64ELj4EdEEv20rocsparse_direction_iiiNS_24const_host_device_scalarIT1_EEPKiS6_PKS3_S4_S6_S6_S8_S6_PiPS3_21rocsparse_index_base_SB_SB_b: ; @_ZN9rocsparseL35bsrgeam_wf_per_row_multipass_kernelILj64ELj4EdEEv20rocsparse_direction_iiiNS_24const_host_device_scalarIT1_EEPKiS6_PKS3_S4_S6_S6_S8_S6_PiPS3_21rocsparse_index_base_SB_SB_b
; %bb.0:
	s_clause 0x2
	s_load_b128 s[4:7], s[0:1], 0x68
	s_load_b64 s[8:9], s[0:1], 0x10
	s_load_b64 s[2:3], s[0:1], 0x30
	s_waitcnt lgkmcnt(0)
	s_bitcmp1_b32 s7, 0
	v_dual_mov_b32 v1, s8 :: v_dual_mov_b32 v2, s9
	s_cselect_b32 s7, -1, 0
	s_delay_alu instid0(SALU_CYCLE_1)
	s_and_b32 vcc_lo, exec_lo, s7
	s_xor_b32 s7, s7, -1
	s_cbranch_vccnz .LBB12_2
; %bb.1:
	v_dual_mov_b32 v1, s8 :: v_dual_mov_b32 v2, s9
	flat_load_b64 v[1:2], v[1:2]
.LBB12_2:
	s_load_b64 s[12:13], s[0:1], 0x18
	v_dual_mov_b32 v4, s3 :: v_dual_mov_b32 v3, s2
	s_and_not1_b32 vcc_lo, exec_lo, s7
	s_cbranch_vccnz .LBB12_4
; %bb.3:
	v_dual_mov_b32 v4, s3 :: v_dual_mov_b32 v3, s2
	flat_load_b64 v[3:4], v[3:4]
.LBB12_4:
	s_load_b128 s[8:11], s[0:1], 0x0
	v_lshrrev_b32_e32 v12, 4, v0
	v_dual_mov_b32 v20, 0 :: v_dual_mov_b32 v5, 0
	s_delay_alu instid0(VALU_DEP_2) | instskip(NEXT) | instid1(VALU_DEP_1)
	v_lshl_or_b32 v10, s15, 2, v12
	v_ashrrev_i32_e32 v11, 31, v10
	s_waitcnt lgkmcnt(0)
	v_cmp_le_i32_e32 vcc_lo, s9, v10
	v_cmp_gt_i32_e64 s2, s9, v10
	s_delay_alu instid0(VALU_DEP_1)
	s_and_saveexec_b32 s7, s2
	s_cbranch_execz .LBB12_6
; %bb.5:
	v_lshlrev_b64 v[5:6], 2, v[10:11]
	s_delay_alu instid0(VALU_DEP_1) | instskip(NEXT) | instid1(VALU_DEP_1)
	v_add_co_u32 v5, s3, s12, v5
	v_add_co_ci_u32_e64 v6, s3, s13, v6, s3
	global_load_b32 v5, v[5:6], off
	s_waitcnt vmcnt(0)
	v_subrev_nc_u32_e32 v5, s4, v5
.LBB12_6:
	s_or_b32 exec_lo, exec_lo, s7
	s_load_b64 s[14:15], s[0:1], 0x38
	s_and_saveexec_b32 s7, s2
	s_cbranch_execz .LBB12_8
; %bb.7:
	v_lshlrev_b64 v[6:7], 2, v[10:11]
	s_delay_alu instid0(VALU_DEP_1) | instskip(NEXT) | instid1(VALU_DEP_1)
	v_add_co_u32 v6, s3, s12, v6
	v_add_co_ci_u32_e64 v7, s3, s13, v7, s3
	global_load_b32 v6, v[6:7], off offset:4
	s_waitcnt vmcnt(0)
	v_subrev_nc_u32_e32 v20, s4, v6
.LBB12_8:
	s_or_b32 exec_lo, exec_lo, s7
	v_mov_b32_e32 v21, 0
	v_mov_b32_e32 v7, 0
	s_and_saveexec_b32 s7, s2
	s_cbranch_execz .LBB12_10
; %bb.9:
	v_lshlrev_b64 v[6:7], 2, v[10:11]
	s_waitcnt lgkmcnt(0)
	s_delay_alu instid0(VALU_DEP_1) | instskip(NEXT) | instid1(VALU_DEP_1)
	v_add_co_u32 v6, s3, s14, v6
	v_add_co_ci_u32_e64 v7, s3, s15, v7, s3
	global_load_b32 v6, v[6:7], off
	s_waitcnt vmcnt(0)
	v_subrev_nc_u32_e32 v7, s5, v6
.LBB12_10:
	s_or_b32 exec_lo, exec_lo, s7
	s_and_saveexec_b32 s7, s2
	s_cbranch_execz .LBB12_12
; %bb.11:
	v_lshlrev_b64 v[8:9], 2, v[10:11]
	s_waitcnt lgkmcnt(0)
	s_delay_alu instid0(VALU_DEP_1) | instskip(NEXT) | instid1(VALU_DEP_1)
	v_add_co_u32 v8, s3, s14, v8
	v_add_co_ci_u32_e64 v9, s3, s15, v9, s3
	global_load_b32 v6, v[8:9], off offset:4
	s_waitcnt vmcnt(0)
	v_subrev_nc_u32_e32 v21, s5, v6
.LBB12_12:
	s_or_b32 exec_lo, exec_lo, s7
	s_load_b64 s[16:17], s[0:1], 0x20
	v_mov_b32_e32 v9, 0
	s_and_saveexec_b32 s3, s2
	s_cbranch_execz .LBB12_14
; %bb.13:
	s_load_b64 s[12:13], s[0:1], 0x50
	v_lshlrev_b64 v[8:9], 2, v[10:11]
	s_waitcnt lgkmcnt(0)
	s_delay_alu instid0(VALU_DEP_1) | instskip(NEXT) | instid1(VALU_DEP_1)
	v_add_co_u32 v8, s2, s12, v8
	v_add_co_ci_u32_e64 v9, s2, s13, v9, s2
	global_load_b32 v6, v[8:9], off
	s_waitcnt vmcnt(0)
	v_subrev_nc_u32_e32 v9, s6, v6
.LBB12_14:
	s_or_b32 exec_lo, exec_lo, s3
	s_load_b64 s[18:19], s[0:1], 0x40
	v_mov_b32_e32 v6, s10
	s_mov_b32 s3, exec_lo
	v_cmpx_lt_i32_e64 v5, v20
	s_cbranch_execz .LBB12_16
; %bb.15:
	v_ashrrev_i32_e32 v6, 31, v5
	s_delay_alu instid0(VALU_DEP_1) | instskip(SKIP_1) | instid1(VALU_DEP_1)
	v_lshlrev_b64 v[10:11], 2, v[5:6]
	s_waitcnt lgkmcnt(0)
	v_add_co_u32 v10, s2, s16, v10
	s_delay_alu instid0(VALU_DEP_1)
	v_add_co_ci_u32_e64 v11, s2, s17, v11, s2
	global_load_b32 v6, v[10:11], off
	s_waitcnt vmcnt(0)
	v_subrev_nc_u32_e32 v6, s4, v6
.LBB12_16:
	s_or_b32 exec_lo, exec_lo, s3
	v_mov_b32_e32 v8, s10
	s_mov_b32 s3, exec_lo
	v_cmpx_lt_i32_e64 v7, v21
	s_cbranch_execz .LBB12_18
; %bb.17:
	v_ashrrev_i32_e32 v8, 31, v7
	s_delay_alu instid0(VALU_DEP_1) | instskip(SKIP_1) | instid1(VALU_DEP_1)
	v_lshlrev_b64 v[10:11], 2, v[7:8]
	s_waitcnt lgkmcnt(0)
	v_add_co_u32 v10, s2, s18, v10
	s_delay_alu instid0(VALU_DEP_1)
	v_add_co_ci_u32_e64 v11, s2, s19, v11, s2
	global_load_b32 v8, v[10:11], off
	s_waitcnt vmcnt(0)
	v_subrev_nc_u32_e32 v8, s5, v8
.LBB12_18:
	s_or_b32 exec_lo, exec_lo, s3
	v_cndmask_b32_e64 v13, 0, 1, vcc_lo
	v_dual_mov_b32 v11, 0 :: v_dual_lshlrev_b32 v10, 2, v12
	ds_store_b32 v10, v13 offset:512
	s_waitcnt vmcnt(0) lgkmcnt(0)
	s_barrier
	buffer_gl0_inv
	ds_load_b32 v13, v11 offset:512
	s_waitcnt lgkmcnt(0)
	v_cmp_lt_u32_e32 vcc_lo, 3, v13
	s_cbranch_vccnz .LBB12_58
; %bb.19:
	s_cmp_eq_u32 s8, 0
	v_bfe_u32 v14, v0, 2, 2
	s_cselect_b32 vcc_lo, -1, 0
	v_and_b32_e32 v13, 3, v0
	v_or_b32_e32 v22, 0x200, v10
	v_and_b32_e32 v10, 48, v0
	v_lshlrev_b32_e32 v15, 2, v14
	s_load_b128 s[12:15], s[0:1], 0x58
	v_dual_mov_b32 v29, 1 :: v_dual_lshlrev_b32 v16, 2, v13
	s_clause 0x1
	s_load_b64 s[20:21], s[0:1], 0x28
	s_load_b64 s[22:23], s[0:1], 0x48
	v_min_i32_e32 v30, v8, v6
	v_or3_b32 v8, v15, v10, v13
	v_or3_b32 v10, v16, v10, v14
	v_lshl_or_b32 v23, v12, 2, 0x210
	v_mov_b32_e32 v12, v11
	v_lshlrev_b32_e32 v24, 3, v0
	v_lshlrev_b32_e32 v25, 3, v8
	;; [unrolled: 1-line block ×3, first 2 shown]
	v_cmp_gt_u32_e64 s1, 2, v0
	v_lshl_or_b32 v27, v0, 2, 0x200
	v_cmp_eq_u32_e64 s2, 0, v0
	s_cmp_lg_u32 s8, 0
	v_cndmask_b32_e32 v28, v25, v26, vcc_lo
	v_max_i32_e32 v6, v14, v13
	v_dual_cndmask_b32 v0, v14, v13 :: v_dual_cndmask_b32 v15, v13, v14
	s_cselect_b32 s7, -1, 0
	s_mul_i32 s8, s11, s11
	s_delay_alu instid0(VALU_DEP_2)
	v_cmp_gt_i32_e64 s0, s11, v6
	s_branch .LBB12_21
.LBB12_20:                              ;   in Loop: Header=BB12_21 Depth=1
	s_or_b32 exec_lo, exec_lo, s3
	s_waitcnt lgkmcnt(0)
	s_barrier
	buffer_gl0_inv
	ds_load_b32 v8, v11 offset:512
	v_dual_mov_b32 v30, v6 :: v_dual_add_nc_u32 v9, 1, v9
	s_waitcnt lgkmcnt(0)
	v_cmp_gt_u32_e32 vcc_lo, 4, v8
	s_cbranch_vccz .LBB12_58
.LBB12_21:                              ; =>This Loop Header: Depth=1
                                        ;     Child Loop BB12_24 Depth 2
                                        ;     Child Loop BB12_39 Depth 2
	v_mov_b32_e32 v6, s10
	s_mov_b32 s9, exec_lo
	ds_store_b32 v23, v11
	ds_store_b64 v24, v[11:12]
	s_waitcnt lgkmcnt(0)
	s_barrier
	buffer_gl0_inv
	v_cmpx_lt_i32_e64 v5, v20
	s_cbranch_execz .LBB12_36
; %bb.22:                               ;   in Loop: Header=BB12_21 Depth=1
	v_mul_lo_u32 v8, s11, v5
	v_ashrrev_i32_e32 v6, 31, v5
	s_mov_b32 s24, 0
	s_mov_b32 s25, 0
	s_delay_alu instid0(VALU_DEP_1) | instskip(SKIP_1) | instid1(VALU_DEP_4)
	v_lshlrev_b64 v[31:32], 2, v[5:6]
	v_mov_b32_e32 v6, s10
	v_add_nc_u32_e32 v10, v13, v8
	v_add_nc_u32_e32 v8, v14, v8
	s_delay_alu instid0(VALU_DEP_2) | instskip(NEXT) | instid1(VALU_DEP_2)
	v_mad_u64_u32 v[16:17], null, s11, v10, v[14:15]
	v_mad_u64_u32 v[17:18], null, s11, v8, v[13:14]
	v_add_co_u32 v18, vcc_lo, s16, v31
	v_add_co_ci_u32_e32 v19, vcc_lo, s17, v32, vcc_lo
	s_branch .LBB12_24
.LBB12_23:                              ;   in Loop: Header=BB12_24 Depth=2
	s_or_b32 exec_lo, exec_lo, s26
	v_dual_mov_b32 v10, v5 :: v_dual_mov_b32 v5, v8
	s_and_b32 s3, exec_lo, s27
	s_delay_alu instid0(SALU_CYCLE_1) | instskip(NEXT) | instid1(SALU_CYCLE_1)
	s_or_b32 s24, s3, s24
	s_and_not1_b32 exec_lo, exec_lo, s24
	s_cbranch_execz .LBB12_35
.LBB12_24:                              ;   Parent Loop BB12_21 Depth=1
                                        ; =>  This Inner Loop Header: Depth=2
	global_load_b32 v8, v[18:19], off
	s_waitcnt vmcnt(0)
	v_subrev_nc_u32_e32 v8, s4, v8
	s_delay_alu instid0(VALU_DEP_1) | instskip(NEXT) | instid1(VALU_DEP_1)
	v_cmp_le_i32_e64 s3, v8, v30
	s_and_saveexec_b32 s26, s3
	s_delay_alu instid0(SALU_CYCLE_1)
	s_xor_b32 s26, exec_lo, s26
	s_cbranch_execz .LBB12_28
; %bb.25:                               ;   in Loop: Header=BB12_24 Depth=2
	ds_store_b32 v23, v29
	s_and_saveexec_b32 s27, s0
	s_cbranch_execz .LBB12_34
; %bb.26:                               ;   in Loop: Header=BB12_24 Depth=2
	s_and_b32 vcc_lo, exec_lo, s7
	s_cbranch_vccz .LBB12_32
; %bb.27:                               ;   in Loop: Header=BB12_24 Depth=2
	v_add_nc_u32_e32 v31, s25, v17
	s_delay_alu instid0(VALU_DEP_1) | instskip(NEXT) | instid1(VALU_DEP_1)
	v_ashrrev_i32_e32 v32, 31, v31
	v_lshlrev_b64 v[31:32], 3, v[31:32]
	s_delay_alu instid0(VALU_DEP_1) | instskip(NEXT) | instid1(VALU_DEP_2)
	v_add_co_u32 v31, vcc_lo, s20, v31
	v_add_co_ci_u32_e32 v32, vcc_lo, s21, v32, vcc_lo
	global_load_b64 v[31:32], v[31:32], off
	s_waitcnt vmcnt(0)
	v_mul_f64 v[31:32], v[1:2], v[31:32]
	ds_store_b64 v25, v[31:32]
	s_cbranch_execz .LBB12_33
	s_branch .LBB12_34
.LBB12_28:                              ;   in Loop: Header=BB12_24 Depth=2
	s_and_not1_saveexec_b32 s26, s26
.LBB12_29:                              ;   in Loop: Header=BB12_24 Depth=2
	v_min_i32_e32 v6, v8, v6
.LBB12_30:                              ;   in Loop: Header=BB12_24 Depth=2
	s_or_b32 exec_lo, exec_lo, s26
	s_mov_b32 s27, -1
                                        ; implicit-def: $vgpr8
	s_and_saveexec_b32 s26, s3
	s_cbranch_execz .LBB12_23
; %bb.31:                               ;   in Loop: Header=BB12_24 Depth=2
	v_dual_mov_b32 v5, v20 :: v_dual_add_nc_u32 v8, 1, v5
	v_add_co_u32 v18, s3, v18, 4
	s_delay_alu instid0(VALU_DEP_1) | instskip(NEXT) | instid1(VALU_DEP_3)
	v_add_co_ci_u32_e64 v19, s3, 0, v19, s3
	v_cmp_ge_i32_e32 vcc_lo, v8, v20
	s_add_i32 s25, s25, s8
	s_or_not1_b32 s27, vcc_lo, exec_lo
	s_branch .LBB12_23
.LBB12_32:                              ;   in Loop: Header=BB12_24 Depth=2
.LBB12_33:                              ;   in Loop: Header=BB12_24 Depth=2
	v_add_nc_u32_e32 v31, s25, v16
	s_delay_alu instid0(VALU_DEP_1) | instskip(NEXT) | instid1(VALU_DEP_1)
	v_ashrrev_i32_e32 v32, 31, v31
	v_lshlrev_b64 v[31:32], 3, v[31:32]
	s_delay_alu instid0(VALU_DEP_1) | instskip(NEXT) | instid1(VALU_DEP_2)
	v_add_co_u32 v31, vcc_lo, s20, v31
	v_add_co_ci_u32_e32 v32, vcc_lo, s21, v32, vcc_lo
	global_load_b64 v[31:32], v[31:32], off
	s_waitcnt vmcnt(0)
	v_mul_f64 v[31:32], v[1:2], v[31:32]
	ds_store_b64 v26, v[31:32]
.LBB12_34:                              ;   in Loop: Header=BB12_24 Depth=2
	s_or_b32 exec_lo, exec_lo, s27
                                        ; implicit-def: $vgpr8
	s_and_not1_saveexec_b32 s26, s26
	s_cbranch_execz .LBB12_30
	s_branch .LBB12_29
.LBB12_35:                              ;   in Loop: Header=BB12_21 Depth=1
	s_or_b32 exec_lo, exec_lo, s24
	v_mov_b32_e32 v5, v10
.LBB12_36:                              ;   in Loop: Header=BB12_21 Depth=1
	s_or_b32 exec_lo, exec_lo, s9
	s_delay_alu instid0(SALU_CYCLE_1)
	s_mov_b32 s9, exec_lo
	s_waitcnt lgkmcnt(0)
	s_barrier
	buffer_gl0_inv
	v_cmpx_lt_i32_e64 v7, v21
	s_cbranch_execz .LBB12_51
; %bb.37:                               ;   in Loop: Header=BB12_21 Depth=1
	v_mul_lo_u32 v10, s11, v7
	v_ashrrev_i32_e32 v8, 31, v7
	s_mov_b32 s24, 0
	s_mov_b32 s25, 0
	s_delay_alu instid0(VALU_DEP_1) | instskip(NEXT) | instid1(VALU_DEP_3)
	v_lshlrev_b64 v[31:32], 2, v[7:8]
	v_add_nc_u32_e32 v18, v13, v10
	v_add_nc_u32_e32 v10, v14, v10
	s_delay_alu instid0(VALU_DEP_2) | instskip(NEXT) | instid1(VALU_DEP_2)
	v_mad_u64_u32 v[16:17], null, s11, v18, v[14:15]
	v_mad_u64_u32 v[17:18], null, s11, v10, v[13:14]
	v_add_co_u32 v18, vcc_lo, s18, v31
	v_add_co_ci_u32_e32 v19, vcc_lo, s19, v32, vcc_lo
	s_branch .LBB12_39
.LBB12_38:                              ;   in Loop: Header=BB12_39 Depth=2
	s_or_b32 exec_lo, exec_lo, s26
	v_dual_mov_b32 v10, v7 :: v_dual_mov_b32 v7, v8
	s_and_b32 s3, exec_lo, s27
	s_delay_alu instid0(SALU_CYCLE_1) | instskip(NEXT) | instid1(SALU_CYCLE_1)
	s_or_b32 s24, s3, s24
	s_and_not1_b32 exec_lo, exec_lo, s24
	s_cbranch_execz .LBB12_50
.LBB12_39:                              ;   Parent Loop BB12_21 Depth=1
                                        ; =>  This Inner Loop Header: Depth=2
	global_load_b32 v8, v[18:19], off
	s_waitcnt vmcnt(0)
	v_subrev_nc_u32_e32 v8, s5, v8
	s_delay_alu instid0(VALU_DEP_1) | instskip(NEXT) | instid1(VALU_DEP_1)
	v_cmp_le_i32_e64 s3, v8, v30
	s_and_saveexec_b32 s26, s3
	s_delay_alu instid0(SALU_CYCLE_1)
	s_xor_b32 s26, exec_lo, s26
	s_cbranch_execz .LBB12_43
; %bb.40:                               ;   in Loop: Header=BB12_39 Depth=2
	ds_store_b32 v23, v29
	s_and_saveexec_b32 s27, s0
	s_cbranch_execz .LBB12_49
; %bb.41:                               ;   in Loop: Header=BB12_39 Depth=2
	s_and_b32 vcc_lo, exec_lo, s7
	s_cbranch_vccz .LBB12_47
; %bb.42:                               ;   in Loop: Header=BB12_39 Depth=2
	v_add_nc_u32_e32 v31, s25, v17
	ds_load_b64 v[33:34], v25
	v_ashrrev_i32_e32 v32, 31, v31
	s_delay_alu instid0(VALU_DEP_1) | instskip(NEXT) | instid1(VALU_DEP_1)
	v_lshlrev_b64 v[31:32], 3, v[31:32]
	v_add_co_u32 v31, vcc_lo, s22, v31
	s_delay_alu instid0(VALU_DEP_2)
	v_add_co_ci_u32_e32 v32, vcc_lo, s23, v32, vcc_lo
	global_load_b64 v[31:32], v[31:32], off
	s_waitcnt vmcnt(0) lgkmcnt(0)
	v_fma_f64 v[31:32], v[3:4], v[31:32], v[33:34]
	ds_store_b64 v25, v[31:32]
	s_cbranch_execz .LBB12_48
	s_branch .LBB12_49
.LBB12_43:                              ;   in Loop: Header=BB12_39 Depth=2
	s_and_not1_saveexec_b32 s26, s26
.LBB12_44:                              ;   in Loop: Header=BB12_39 Depth=2
	v_min_i32_e32 v6, v8, v6
.LBB12_45:                              ;   in Loop: Header=BB12_39 Depth=2
	s_or_b32 exec_lo, exec_lo, s26
	s_mov_b32 s27, -1
                                        ; implicit-def: $vgpr8
	s_and_saveexec_b32 s26, s3
	s_cbranch_execz .LBB12_38
; %bb.46:                               ;   in Loop: Header=BB12_39 Depth=2
	v_dual_mov_b32 v7, v21 :: v_dual_add_nc_u32 v8, 1, v7
	v_add_co_u32 v18, s3, v18, 4
	s_delay_alu instid0(VALU_DEP_1) | instskip(NEXT) | instid1(VALU_DEP_3)
	v_add_co_ci_u32_e64 v19, s3, 0, v19, s3
	v_cmp_ge_i32_e32 vcc_lo, v8, v21
	s_add_i32 s25, s25, s8
	s_or_not1_b32 s27, vcc_lo, exec_lo
	s_branch .LBB12_38
.LBB12_47:                              ;   in Loop: Header=BB12_39 Depth=2
.LBB12_48:                              ;   in Loop: Header=BB12_39 Depth=2
	v_add_nc_u32_e32 v31, s25, v16
	ds_load_b64 v[33:34], v26
	v_ashrrev_i32_e32 v32, 31, v31
	s_delay_alu instid0(VALU_DEP_1) | instskip(NEXT) | instid1(VALU_DEP_1)
	v_lshlrev_b64 v[31:32], 3, v[31:32]
	v_add_co_u32 v31, vcc_lo, s22, v31
	s_delay_alu instid0(VALU_DEP_2)
	v_add_co_ci_u32_e32 v32, vcc_lo, s23, v32, vcc_lo
	global_load_b64 v[31:32], v[31:32], off
	s_waitcnt vmcnt(0) lgkmcnt(0)
	v_fma_f64 v[31:32], v[3:4], v[31:32], v[33:34]
	ds_store_b64 v26, v[31:32]
.LBB12_49:                              ;   in Loop: Header=BB12_39 Depth=2
	s_or_b32 exec_lo, exec_lo, s27
                                        ; implicit-def: $vgpr8
	s_and_not1_saveexec_b32 s26, s26
	s_cbranch_execz .LBB12_45
	s_branch .LBB12_44
.LBB12_50:                              ;   in Loop: Header=BB12_21 Depth=1
	s_or_b32 exec_lo, exec_lo, s24
	v_mov_b32_e32 v7, v10
.LBB12_51:                              ;   in Loop: Header=BB12_21 Depth=1
	s_or_b32 exec_lo, exec_lo, s9
	s_waitcnt lgkmcnt(0)
	s_barrier
	buffer_gl0_inv
	ds_load_b32 v8, v23
	s_mov_b32 s3, exec_lo
	s_waitcnt lgkmcnt(0)
	v_cmpx_ne_u32_e32 0, v8
	s_cbranch_execz .LBB12_54
; %bb.52:                               ;   in Loop: Header=BB12_21 Depth=1
	v_ashrrev_i32_e32 v10, 31, v9
	v_add_nc_u32_e32 v8, s6, v30
	s_delay_alu instid0(VALU_DEP_2) | instskip(NEXT) | instid1(VALU_DEP_1)
	v_lshlrev_b64 v[16:17], 2, v[9:10]
	v_add_co_u32 v16, vcc_lo, s12, v16
	s_delay_alu instid0(VALU_DEP_2)
	v_add_co_ci_u32_e32 v17, vcc_lo, s13, v17, vcc_lo
	global_store_b32 v[16:17], v8, off
	s_and_b32 exec_lo, exec_lo, s0
	s_cbranch_execz .LBB12_54
; %bb.53:                               ;   in Loop: Header=BB12_21 Depth=1
	v_mad_u64_u32 v[16:17], null, v9, s11, v[0:1]
	ds_load_b64 v[30:31], v28
	v_mad_u64_u32 v[17:18], null, v16, s11, v[15:16]
	s_delay_alu instid0(VALU_DEP_1) | instskip(NEXT) | instid1(VALU_DEP_1)
	v_ashrrev_i32_e32 v18, 31, v17
	v_lshlrev_b64 v[16:17], 3, v[17:18]
	s_delay_alu instid0(VALU_DEP_1) | instskip(NEXT) | instid1(VALU_DEP_2)
	v_add_co_u32 v16, vcc_lo, s14, v16
	v_add_co_ci_u32_e32 v17, vcc_lo, s15, v17, vcc_lo
	s_waitcnt lgkmcnt(0)
	global_store_b64 v[16:17], v[30:31], off
.LBB12_54:                              ;   in Loop: Header=BB12_21 Depth=1
	s_or_b32 exec_lo, exec_lo, s3
	v_cmp_le_i32_e32 vcc_lo, s10, v6
	s_waitcnt_vscnt null, 0x0
	s_barrier
	buffer_gl0_inv
	v_cndmask_b32_e64 v8, 0, 1, vcc_lo
	s_barrier
	buffer_gl0_inv
	ds_store_b32 v22, v8
	s_waitcnt lgkmcnt(0)
	s_barrier
	buffer_gl0_inv
	s_and_saveexec_b32 s3, s1
	s_cbranch_execz .LBB12_56
; %bb.55:                               ;   in Loop: Header=BB12_21 Depth=1
	ds_load_2addr_b32 v[16:17], v27 offset1:2
	s_waitcnt lgkmcnt(0)
	v_add_nc_u32_e32 v8, v17, v16
	ds_store_b32 v27, v8
.LBB12_56:                              ;   in Loop: Header=BB12_21 Depth=1
	s_or_b32 exec_lo, exec_lo, s3
	s_waitcnt lgkmcnt(0)
	s_barrier
	buffer_gl0_inv
	s_and_saveexec_b32 s3, s2
	s_cbranch_execz .LBB12_20
; %bb.57:                               ;   in Loop: Header=BB12_21 Depth=1
	ds_load_b64 v[16:17], v11 offset:512
	s_waitcnt lgkmcnt(0)
	v_add_nc_u32_e32 v8, v17, v16
	ds_store_b32 v11, v8 offset:512
	s_branch .LBB12_20
.LBB12_58:
	s_endpgm
	.section	.rodata,"a",@progbits
	.p2align	6, 0x0
	.amdhsa_kernel _ZN9rocsparseL35bsrgeam_wf_per_row_multipass_kernelILj64ELj4EdEEv20rocsparse_direction_iiiNS_24const_host_device_scalarIT1_EEPKiS6_PKS3_S4_S6_S6_S8_S6_PiPS3_21rocsparse_index_base_SB_SB_b
		.amdhsa_group_segment_fixed_size 544
		.amdhsa_private_segment_fixed_size 0
		.amdhsa_kernarg_size 120
		.amdhsa_user_sgpr_count 15
		.amdhsa_user_sgpr_dispatch_ptr 0
		.amdhsa_user_sgpr_queue_ptr 0
		.amdhsa_user_sgpr_kernarg_segment_ptr 1
		.amdhsa_user_sgpr_dispatch_id 0
		.amdhsa_user_sgpr_private_segment_size 0
		.amdhsa_wavefront_size32 1
		.amdhsa_uses_dynamic_stack 0
		.amdhsa_enable_private_segment 0
		.amdhsa_system_sgpr_workgroup_id_x 1
		.amdhsa_system_sgpr_workgroup_id_y 0
		.amdhsa_system_sgpr_workgroup_id_z 0
		.amdhsa_system_sgpr_workgroup_info 0
		.amdhsa_system_vgpr_workitem_id 0
		.amdhsa_next_free_vgpr 35
		.amdhsa_next_free_sgpr 28
		.amdhsa_reserve_vcc 1
		.amdhsa_float_round_mode_32 0
		.amdhsa_float_round_mode_16_64 0
		.amdhsa_float_denorm_mode_32 3
		.amdhsa_float_denorm_mode_16_64 3
		.amdhsa_dx10_clamp 1
		.amdhsa_ieee_mode 1
		.amdhsa_fp16_overflow 0
		.amdhsa_workgroup_processor_mode 1
		.amdhsa_memory_ordered 1
		.amdhsa_forward_progress 0
		.amdhsa_shared_vgpr_count 0
		.amdhsa_exception_fp_ieee_invalid_op 0
		.amdhsa_exception_fp_denorm_src 0
		.amdhsa_exception_fp_ieee_div_zero 0
		.amdhsa_exception_fp_ieee_overflow 0
		.amdhsa_exception_fp_ieee_underflow 0
		.amdhsa_exception_fp_ieee_inexact 0
		.amdhsa_exception_int_div_zero 0
	.end_amdhsa_kernel
	.section	.text._ZN9rocsparseL35bsrgeam_wf_per_row_multipass_kernelILj64ELj4EdEEv20rocsparse_direction_iiiNS_24const_host_device_scalarIT1_EEPKiS6_PKS3_S4_S6_S6_S8_S6_PiPS3_21rocsparse_index_base_SB_SB_b,"axG",@progbits,_ZN9rocsparseL35bsrgeam_wf_per_row_multipass_kernelILj64ELj4EdEEv20rocsparse_direction_iiiNS_24const_host_device_scalarIT1_EEPKiS6_PKS3_S4_S6_S6_S8_S6_PiPS3_21rocsparse_index_base_SB_SB_b,comdat
.Lfunc_end12:
	.size	_ZN9rocsparseL35bsrgeam_wf_per_row_multipass_kernelILj64ELj4EdEEv20rocsparse_direction_iiiNS_24const_host_device_scalarIT1_EEPKiS6_PKS3_S4_S6_S6_S8_S6_PiPS3_21rocsparse_index_base_SB_SB_b, .Lfunc_end12-_ZN9rocsparseL35bsrgeam_wf_per_row_multipass_kernelILj64ELj4EdEEv20rocsparse_direction_iiiNS_24const_host_device_scalarIT1_EEPKiS6_PKS3_S4_S6_S6_S8_S6_PiPS3_21rocsparse_index_base_SB_SB_b
                                        ; -- End function
	.section	.AMDGPU.csdata,"",@progbits
; Kernel info:
; codeLenInByte = 2216
; NumSgprs: 30
; NumVgprs: 35
; ScratchSize: 0
; MemoryBound: 0
; FloatMode: 240
; IeeeMode: 1
; LDSByteSize: 544 bytes/workgroup (compile time only)
; SGPRBlocks: 3
; VGPRBlocks: 4
; NumSGPRsForWavesPerEU: 30
; NumVGPRsForWavesPerEU: 35
; Occupancy: 16
; WaveLimiterHint : 1
; COMPUTE_PGM_RSRC2:SCRATCH_EN: 0
; COMPUTE_PGM_RSRC2:USER_SGPR: 15
; COMPUTE_PGM_RSRC2:TRAP_HANDLER: 0
; COMPUTE_PGM_RSRC2:TGID_X_EN: 1
; COMPUTE_PGM_RSRC2:TGID_Y_EN: 0
; COMPUTE_PGM_RSRC2:TGID_Z_EN: 0
; COMPUTE_PGM_RSRC2:TIDIG_COMP_CNT: 0
	.section	.text._ZN9rocsparseL35bsrgeam_wf_per_row_multipass_kernelILj64ELj8EdEEv20rocsparse_direction_iiiNS_24const_host_device_scalarIT1_EEPKiS6_PKS3_S4_S6_S6_S8_S6_PiPS3_21rocsparse_index_base_SB_SB_b,"axG",@progbits,_ZN9rocsparseL35bsrgeam_wf_per_row_multipass_kernelILj64ELj8EdEEv20rocsparse_direction_iiiNS_24const_host_device_scalarIT1_EEPKiS6_PKS3_S4_S6_S6_S8_S6_PiPS3_21rocsparse_index_base_SB_SB_b,comdat
	.globl	_ZN9rocsparseL35bsrgeam_wf_per_row_multipass_kernelILj64ELj8EdEEv20rocsparse_direction_iiiNS_24const_host_device_scalarIT1_EEPKiS6_PKS3_S4_S6_S6_S8_S6_PiPS3_21rocsparse_index_base_SB_SB_b ; -- Begin function _ZN9rocsparseL35bsrgeam_wf_per_row_multipass_kernelILj64ELj8EdEEv20rocsparse_direction_iiiNS_24const_host_device_scalarIT1_EEPKiS6_PKS3_S4_S6_S6_S8_S6_PiPS3_21rocsparse_index_base_SB_SB_b
	.p2align	8
	.type	_ZN9rocsparseL35bsrgeam_wf_per_row_multipass_kernelILj64ELj8EdEEv20rocsparse_direction_iiiNS_24const_host_device_scalarIT1_EEPKiS6_PKS3_S4_S6_S6_S8_S6_PiPS3_21rocsparse_index_base_SB_SB_b,@function
_ZN9rocsparseL35bsrgeam_wf_per_row_multipass_kernelILj64ELj8EdEEv20rocsparse_direction_iiiNS_24const_host_device_scalarIT1_EEPKiS6_PKS3_S4_S6_S6_S8_S6_PiPS3_21rocsparse_index_base_SB_SB_b: ; @_ZN9rocsparseL35bsrgeam_wf_per_row_multipass_kernelILj64ELj8EdEEv20rocsparse_direction_iiiNS_24const_host_device_scalarIT1_EEPKiS6_PKS3_S4_S6_S6_S8_S6_PiPS3_21rocsparse_index_base_SB_SB_b
; %bb.0:
	s_clause 0x2
	s_load_b128 s[4:7], s[0:1], 0x68
	s_load_b64 s[2:3], s[0:1], 0x10
	s_load_b64 s[8:9], s[0:1], 0x30
	s_waitcnt lgkmcnt(0)
	s_bitcmp1_b32 s7, 0
	v_dual_mov_b32 v1, s2 :: v_dual_mov_b32 v2, s3
	s_cselect_b32 s7, -1, 0
	s_delay_alu instid0(SALU_CYCLE_1)
	s_and_b32 vcc_lo, exec_lo, s7
	s_xor_b32 s7, s7, -1
	s_cbranch_vccnz .LBB13_2
; %bb.1:
	v_dual_mov_b32 v1, s2 :: v_dual_mov_b32 v2, s3
	flat_load_b64 v[1:2], v[1:2]
.LBB13_2:
	s_load_b64 s[2:3], s[0:1], 0x18
	v_dual_mov_b32 v3, s8 :: v_dual_mov_b32 v4, s9
	s_and_not1_b32 vcc_lo, exec_lo, s7
	s_cbranch_vccnz .LBB13_4
; %bb.3:
	v_dual_mov_b32 v3, s8 :: v_dual_mov_b32 v4, s9
	flat_load_b64 v[3:4], v[3:4]
.LBB13_4:
	s_load_b128 s[8:11], s[0:1], 0x0
	v_dual_mov_b32 v8, s15 :: v_dual_mov_b32 v5, 0
	v_mov_b32_e32 v20, 0
	s_waitcnt lgkmcnt(0)
	s_cmp_ge_i32 s15, s9
	s_cselect_b32 s7, -1, 0
	s_cmp_lt_i32 s15, s9
	s_cselect_b32 s9, -1, 0
	s_delay_alu instid0(SALU_CYCLE_1)
	s_and_saveexec_b32 s12, s9
	s_cbranch_execz .LBB13_6
; %bb.5:
	v_ashrrev_i32_e64 v9, 31, s15
	s_delay_alu instid0(VALU_DEP_1) | instskip(NEXT) | instid1(VALU_DEP_1)
	v_lshlrev_b64 v[5:6], 2, v[8:9]
	v_add_co_u32 v5, vcc_lo, s2, v5
	s_delay_alu instid0(VALU_DEP_2)
	v_add_co_ci_u32_e32 v6, vcc_lo, s3, v6, vcc_lo
	global_load_b32 v5, v[5:6], off
	s_waitcnt vmcnt(0)
	v_subrev_nc_u32_e32 v5, s4, v5
.LBB13_6:
	s_or_b32 exec_lo, exec_lo, s12
	s_load_b64 s[12:13], s[0:1], 0x38
	s_and_saveexec_b32 s14, s9
	s_cbranch_execz .LBB13_8
; %bb.7:
	v_ashrrev_i32_e64 v9, 31, s15
	s_delay_alu instid0(VALU_DEP_1) | instskip(NEXT) | instid1(VALU_DEP_1)
	v_lshlrev_b64 v[6:7], 2, v[8:9]
	v_add_co_u32 v6, vcc_lo, s2, v6
	s_delay_alu instid0(VALU_DEP_2)
	v_add_co_ci_u32_e32 v7, vcc_lo, s3, v7, vcc_lo
	global_load_b32 v6, v[6:7], off offset:4
	s_waitcnt vmcnt(0)
	v_subrev_nc_u32_e32 v20, s4, v6
.LBB13_8:
	s_or_b32 exec_lo, exec_lo, s14
	v_mov_b32_e32 v21, 0
	v_mov_b32_e32 v7, 0
	s_and_saveexec_b32 s2, s9
	s_cbranch_execz .LBB13_10
; %bb.9:
	v_ashrrev_i32_e64 v9, 31, s15
	s_delay_alu instid0(VALU_DEP_1) | instskip(SKIP_1) | instid1(VALU_DEP_1)
	v_lshlrev_b64 v[6:7], 2, v[8:9]
	s_waitcnt lgkmcnt(0)
	v_add_co_u32 v6, vcc_lo, s12, v6
	s_delay_alu instid0(VALU_DEP_2)
	v_add_co_ci_u32_e32 v7, vcc_lo, s13, v7, vcc_lo
	global_load_b32 v6, v[6:7], off
	s_waitcnt vmcnt(0)
	v_subrev_nc_u32_e32 v7, s5, v6
.LBB13_10:
	s_or_b32 exec_lo, exec_lo, s2
	s_and_saveexec_b32 s2, s9
	s_cbranch_execz .LBB13_12
; %bb.11:
	v_ashrrev_i32_e64 v9, 31, s15
	s_delay_alu instid0(VALU_DEP_1) | instskip(SKIP_1) | instid1(VALU_DEP_1)
	v_lshlrev_b64 v[9:10], 2, v[8:9]
	s_waitcnt lgkmcnt(0)
	v_add_co_u32 v9, vcc_lo, s12, v9
	s_delay_alu instid0(VALU_DEP_2)
	v_add_co_ci_u32_e32 v10, vcc_lo, s13, v10, vcc_lo
	global_load_b32 v6, v[9:10], off offset:4
	s_waitcnt vmcnt(0)
	v_subrev_nc_u32_e32 v21, s5, v6
.LBB13_12:
	s_or_b32 exec_lo, exec_lo, s2
	s_load_b64 s[2:3], s[0:1], 0x20
	v_mov_b32_e32 v9, 0
	s_waitcnt lgkmcnt(0)
	s_and_saveexec_b32 s12, s9
	s_cbranch_execz .LBB13_14
; %bb.13:
	s_load_b64 s[16:17], s[0:1], 0x50
	v_ashrrev_i32_e64 v9, 31, s15
	s_delay_alu instid0(VALU_DEP_1) | instskip(SKIP_1) | instid1(VALU_DEP_1)
	v_lshlrev_b64 v[8:9], 2, v[8:9]
	s_waitcnt lgkmcnt(0)
	v_add_co_u32 v8, vcc_lo, s16, v8
	s_delay_alu instid0(VALU_DEP_2)
	v_add_co_ci_u32_e32 v9, vcc_lo, s17, v9, vcc_lo
	global_load_b32 v6, v[8:9], off
	s_waitcnt vmcnt(0)
	v_subrev_nc_u32_e32 v9, s6, v6
.LBB13_14:
	s_or_b32 exec_lo, exec_lo, s12
	s_load_b64 s[16:17], s[0:1], 0x40
	v_mov_b32_e32 v6, s10
	s_mov_b32 s9, exec_lo
	v_cmpx_lt_i32_e64 v5, v20
	s_cbranch_execz .LBB13_16
; %bb.15:
	v_ashrrev_i32_e32 v6, 31, v5
	s_delay_alu instid0(VALU_DEP_1) | instskip(NEXT) | instid1(VALU_DEP_1)
	v_lshlrev_b64 v[10:11], 2, v[5:6]
	v_add_co_u32 v10, vcc_lo, s2, v10
	s_delay_alu instid0(VALU_DEP_2)
	v_add_co_ci_u32_e32 v11, vcc_lo, s3, v11, vcc_lo
	global_load_b32 v6, v[10:11], off
	s_waitcnt vmcnt(0)
	v_subrev_nc_u32_e32 v6, s4, v6
.LBB13_16:
	s_or_b32 exec_lo, exec_lo, s9
	v_mov_b32_e32 v8, s10
	s_mov_b32 s9, exec_lo
	v_cmpx_lt_i32_e64 v7, v21
	s_cbranch_execz .LBB13_18
; %bb.17:
	v_ashrrev_i32_e32 v8, 31, v7
	s_delay_alu instid0(VALU_DEP_1) | instskip(SKIP_1) | instid1(VALU_DEP_1)
	v_lshlrev_b64 v[10:11], 2, v[7:8]
	s_waitcnt lgkmcnt(0)
	v_add_co_u32 v10, vcc_lo, s16, v10
	s_delay_alu instid0(VALU_DEP_2)
	v_add_co_ci_u32_e32 v11, vcc_lo, s17, v11, vcc_lo
	global_load_b32 v8, v[10:11], off
	s_waitcnt vmcnt(0)
	v_subrev_nc_u32_e32 v8, s5, v8
.LBB13_18:
	s_or_b32 exec_lo, exec_lo, s9
	v_cndmask_b32_e64 v10, 0, 1, s7
	v_mov_b32_e32 v11, 0
	ds_store_b32 v11, v10 offset:512
	s_waitcnt vmcnt(0) lgkmcnt(0)
	s_barrier
	buffer_gl0_inv
	ds_load_b32 v10, v11 offset:512
	s_waitcnt lgkmcnt(0)
	v_cmp_ne_u32_e32 vcc_lo, 0, v10
	s_cbranch_vccz .LBB13_20
.LBB13_19:
	s_endpgm
.LBB13_20:
	s_load_b128 s[12:15], s[0:1], 0x58
	v_dual_mov_b32 v22, 0x200 :: v_dual_and_b32 v13, 7, v0
	v_dual_mov_b32 v23, 0x204 :: v_dual_and_b32 v10, 56, v0
	s_clause 0x1
	s_load_b64 s[18:19], s[0:1], 0x28
	s_load_b64 s[20:21], s[0:1], 0x48
	v_lshrrev_b32_e32 v14, 3, v0
	s_cmp_eq_u32 s8, 0
	v_or_b32_e32 v12, v10, v13
	v_min_i32_e32 v6, v8, v6
	v_lshl_or_b32 v26, v13, 6, v10
	v_max_i32_e32 v8, v14, v13
	s_cselect_b32 vcc_lo, -1, 0
	v_lshlrev_b32_e32 v25, 3, v12
	v_lshlrev_b32_e32 v24, 3, v0
	v_cndmask_b32_e32 v0, v14, v13, vcc_lo
	v_cmp_gt_i32_e64 s0, s11, v8
	v_dual_cndmask_b32 v15, v13, v14 :: v_dual_mov_b32 v12, v11
	v_dual_cndmask_b32 v27, v25, v26 :: v_dual_mov_b32 v28, 1
	s_cmp_lg_u32 s8, 0
	s_mul_i32 s8, s11, s11
	s_cselect_b32 s7, -1, 0
	s_branch .LBB13_22
.LBB13_21:                              ;   in Loop: Header=BB13_22 Depth=1
	s_or_b32 exec_lo, exec_lo, s1
	v_cmp_le_i32_e32 vcc_lo, s10, v6
	s_waitcnt_vscnt null, 0x0
	s_barrier
	buffer_gl0_inv
	v_cndmask_b32_e64 v8, 0, 1, vcc_lo
	s_barrier
	buffer_gl0_inv
	v_add_nc_u32_e32 v9, 1, v9
	ds_store_b32 v22, v8
	s_waitcnt lgkmcnt(0)
	s_barrier
	buffer_gl0_inv
	ds_load_b32 v8, v11 offset:512
	s_waitcnt lgkmcnt(0)
	v_cmp_eq_u32_e32 vcc_lo, 0, v8
	s_cbranch_vccz .LBB13_19
.LBB13_22:                              ; =>This Loop Header: Depth=1
                                        ;     Child Loop BB13_25 Depth 2
                                        ;     Child Loop BB13_40 Depth 2
	v_dual_mov_b32 v29, v6 :: v_dual_mov_b32 v6, s10
	s_mov_b32 s9, exec_lo
	ds_store_b32 v23, v11
	ds_store_b64 v24, v[11:12]
	s_waitcnt lgkmcnt(0)
	s_barrier
	buffer_gl0_inv
	v_cmpx_lt_i32_e64 v5, v20
	s_cbranch_execz .LBB13_37
; %bb.23:                               ;   in Loop: Header=BB13_22 Depth=1
	v_mul_lo_u32 v8, s11, v5
	v_ashrrev_i32_e32 v6, 31, v5
	s_mov_b32 s22, 0
	s_mov_b32 s23, 0
	s_delay_alu instid0(VALU_DEP_1) | instskip(SKIP_1) | instid1(VALU_DEP_4)
	v_lshlrev_b64 v[30:31], 2, v[5:6]
	v_mov_b32_e32 v6, s10
	v_add_nc_u32_e32 v10, v13, v8
	v_add_nc_u32_e32 v8, v14, v8
	s_delay_alu instid0(VALU_DEP_2) | instskip(NEXT) | instid1(VALU_DEP_2)
	v_mad_u64_u32 v[16:17], null, s11, v10, v[14:15]
	v_mad_u64_u32 v[17:18], null, s11, v8, v[13:14]
	v_add_co_u32 v18, vcc_lo, s2, v30
	v_add_co_ci_u32_e32 v19, vcc_lo, s3, v31, vcc_lo
	s_branch .LBB13_25
.LBB13_24:                              ;   in Loop: Header=BB13_25 Depth=2
	s_or_b32 exec_lo, exec_lo, s24
	v_dual_mov_b32 v10, v5 :: v_dual_mov_b32 v5, v8
	s_and_b32 s1, exec_lo, s25
	s_delay_alu instid0(SALU_CYCLE_1) | instskip(NEXT) | instid1(SALU_CYCLE_1)
	s_or_b32 s22, s1, s22
	s_and_not1_b32 exec_lo, exec_lo, s22
	s_cbranch_execz .LBB13_36
.LBB13_25:                              ;   Parent Loop BB13_22 Depth=1
                                        ; =>  This Inner Loop Header: Depth=2
	global_load_b32 v8, v[18:19], off
	s_waitcnt vmcnt(0)
	v_subrev_nc_u32_e32 v8, s4, v8
	s_delay_alu instid0(VALU_DEP_1) | instskip(NEXT) | instid1(VALU_DEP_1)
	v_cmp_le_i32_e64 s1, v8, v29
	s_and_saveexec_b32 s24, s1
	s_delay_alu instid0(SALU_CYCLE_1)
	s_xor_b32 s24, exec_lo, s24
	s_cbranch_execz .LBB13_31
; %bb.26:                               ;   in Loop: Header=BB13_25 Depth=2
	ds_store_b32 v23, v28
	s_and_saveexec_b32 s25, s0
	s_cbranch_execz .LBB13_30
; %bb.27:                               ;   in Loop: Header=BB13_25 Depth=2
	s_and_b32 vcc_lo, exec_lo, s7
	s_cbranch_vccz .LBB13_35
; %bb.28:                               ;   in Loop: Header=BB13_25 Depth=2
	v_add_nc_u32_e32 v30, s23, v17
	s_delay_alu instid0(VALU_DEP_1) | instskip(NEXT) | instid1(VALU_DEP_1)
	v_ashrrev_i32_e32 v31, 31, v30
	v_lshlrev_b64 v[30:31], 3, v[30:31]
	s_delay_alu instid0(VALU_DEP_1) | instskip(NEXT) | instid1(VALU_DEP_2)
	v_add_co_u32 v30, vcc_lo, s18, v30
	v_add_co_ci_u32_e32 v31, vcc_lo, s19, v31, vcc_lo
	global_load_b64 v[30:31], v[30:31], off
	s_waitcnt vmcnt(0)
	v_mul_f64 v[30:31], v[1:2], v[30:31]
	ds_store_b64 v25, v[30:31]
	s_cbranch_execnz .LBB13_30
.LBB13_29:                              ;   in Loop: Header=BB13_25 Depth=2
	v_add_nc_u32_e32 v30, s23, v16
	s_delay_alu instid0(VALU_DEP_1) | instskip(NEXT) | instid1(VALU_DEP_1)
	v_ashrrev_i32_e32 v31, 31, v30
	v_lshlrev_b64 v[30:31], 3, v[30:31]
	s_delay_alu instid0(VALU_DEP_1) | instskip(NEXT) | instid1(VALU_DEP_2)
	v_add_co_u32 v30, vcc_lo, s18, v30
	v_add_co_ci_u32_e32 v31, vcc_lo, s19, v31, vcc_lo
	global_load_b64 v[30:31], v[30:31], off
	s_waitcnt vmcnt(0)
	v_mul_f64 v[30:31], v[1:2], v[30:31]
	ds_store_b64 v26, v[30:31]
.LBB13_30:                              ;   in Loop: Header=BB13_25 Depth=2
	s_or_b32 exec_lo, exec_lo, s25
                                        ; implicit-def: $vgpr8
	s_and_not1_saveexec_b32 s24, s24
	s_branch .LBB13_32
.LBB13_31:                              ;   in Loop: Header=BB13_25 Depth=2
	s_and_not1_saveexec_b32 s24, s24
.LBB13_32:                              ;   in Loop: Header=BB13_25 Depth=2
	v_min_i32_e32 v6, v8, v6
; %bb.33:                               ;   in Loop: Header=BB13_25 Depth=2
	s_or_b32 exec_lo, exec_lo, s24
	s_mov_b32 s25, -1
                                        ; implicit-def: $vgpr8
	s_and_saveexec_b32 s24, s1
	s_cbranch_execz .LBB13_24
; %bb.34:                               ;   in Loop: Header=BB13_25 Depth=2
	v_dual_mov_b32 v5, v20 :: v_dual_add_nc_u32 v8, 1, v5
	v_add_co_u32 v18, s1, v18, 4
	s_delay_alu instid0(VALU_DEP_1) | instskip(NEXT) | instid1(VALU_DEP_3)
	v_add_co_ci_u32_e64 v19, s1, 0, v19, s1
	v_cmp_ge_i32_e32 vcc_lo, v8, v20
	s_add_i32 s23, s23, s8
	s_or_not1_b32 s25, vcc_lo, exec_lo
	s_branch .LBB13_24
.LBB13_35:                              ;   in Loop: Header=BB13_25 Depth=2
	s_branch .LBB13_29
.LBB13_36:                              ;   in Loop: Header=BB13_22 Depth=1
	s_or_b32 exec_lo, exec_lo, s22
	v_mov_b32_e32 v5, v10
.LBB13_37:                              ;   in Loop: Header=BB13_22 Depth=1
	s_or_b32 exec_lo, exec_lo, s9
	s_delay_alu instid0(SALU_CYCLE_1)
	s_mov_b32 s9, exec_lo
	s_waitcnt lgkmcnt(0)
	s_barrier
	buffer_gl0_inv
	v_cmpx_lt_i32_e64 v7, v21
	s_cbranch_execz .LBB13_52
; %bb.38:                               ;   in Loop: Header=BB13_22 Depth=1
	v_mul_lo_u32 v10, s11, v7
	v_ashrrev_i32_e32 v8, 31, v7
	s_mov_b32 s22, 0
	s_mov_b32 s23, 0
	s_delay_alu instid0(VALU_DEP_1) | instskip(NEXT) | instid1(VALU_DEP_3)
	v_lshlrev_b64 v[30:31], 2, v[7:8]
	v_add_nc_u32_e32 v18, v13, v10
	v_add_nc_u32_e32 v10, v14, v10
	s_delay_alu instid0(VALU_DEP_2) | instskip(NEXT) | instid1(VALU_DEP_2)
	v_mad_u64_u32 v[16:17], null, s11, v18, v[14:15]
	v_mad_u64_u32 v[17:18], null, s11, v10, v[13:14]
	v_add_co_u32 v18, vcc_lo, s16, v30
	v_add_co_ci_u32_e32 v19, vcc_lo, s17, v31, vcc_lo
	s_branch .LBB13_40
.LBB13_39:                              ;   in Loop: Header=BB13_40 Depth=2
	s_or_b32 exec_lo, exec_lo, s24
	v_dual_mov_b32 v10, v7 :: v_dual_mov_b32 v7, v8
	s_and_b32 s1, exec_lo, s25
	s_delay_alu instid0(SALU_CYCLE_1) | instskip(NEXT) | instid1(SALU_CYCLE_1)
	s_or_b32 s22, s1, s22
	s_and_not1_b32 exec_lo, exec_lo, s22
	s_cbranch_execz .LBB13_51
.LBB13_40:                              ;   Parent Loop BB13_22 Depth=1
                                        ; =>  This Inner Loop Header: Depth=2
	global_load_b32 v8, v[18:19], off
	s_waitcnt vmcnt(0)
	v_subrev_nc_u32_e32 v8, s5, v8
	s_delay_alu instid0(VALU_DEP_1) | instskip(NEXT) | instid1(VALU_DEP_1)
	v_cmp_le_i32_e64 s1, v8, v29
	s_and_saveexec_b32 s24, s1
	s_delay_alu instid0(SALU_CYCLE_1)
	s_xor_b32 s24, exec_lo, s24
	s_cbranch_execz .LBB13_46
; %bb.41:                               ;   in Loop: Header=BB13_40 Depth=2
	ds_store_b32 v23, v28
	s_and_saveexec_b32 s25, s0
	s_cbranch_execz .LBB13_45
; %bb.42:                               ;   in Loop: Header=BB13_40 Depth=2
	s_and_b32 vcc_lo, exec_lo, s7
	s_cbranch_vccz .LBB13_50
; %bb.43:                               ;   in Loop: Header=BB13_40 Depth=2
	v_add_nc_u32_e32 v30, s23, v17
	ds_load_b64 v[32:33], v25
	v_ashrrev_i32_e32 v31, 31, v30
	s_delay_alu instid0(VALU_DEP_1) | instskip(NEXT) | instid1(VALU_DEP_1)
	v_lshlrev_b64 v[30:31], 3, v[30:31]
	v_add_co_u32 v30, vcc_lo, s20, v30
	s_delay_alu instid0(VALU_DEP_2)
	v_add_co_ci_u32_e32 v31, vcc_lo, s21, v31, vcc_lo
	global_load_b64 v[30:31], v[30:31], off
	s_waitcnt vmcnt(0) lgkmcnt(0)
	v_fma_f64 v[30:31], v[3:4], v[30:31], v[32:33]
	ds_store_b64 v25, v[30:31]
	s_cbranch_execnz .LBB13_45
.LBB13_44:                              ;   in Loop: Header=BB13_40 Depth=2
	v_add_nc_u32_e32 v30, s23, v16
	ds_load_b64 v[32:33], v26
	v_ashrrev_i32_e32 v31, 31, v30
	s_delay_alu instid0(VALU_DEP_1) | instskip(NEXT) | instid1(VALU_DEP_1)
	v_lshlrev_b64 v[30:31], 3, v[30:31]
	v_add_co_u32 v30, vcc_lo, s20, v30
	s_delay_alu instid0(VALU_DEP_2)
	v_add_co_ci_u32_e32 v31, vcc_lo, s21, v31, vcc_lo
	global_load_b64 v[30:31], v[30:31], off
	s_waitcnt vmcnt(0) lgkmcnt(0)
	v_fma_f64 v[30:31], v[3:4], v[30:31], v[32:33]
	ds_store_b64 v26, v[30:31]
.LBB13_45:                              ;   in Loop: Header=BB13_40 Depth=2
	s_or_b32 exec_lo, exec_lo, s25
                                        ; implicit-def: $vgpr8
	s_and_not1_saveexec_b32 s24, s24
	s_branch .LBB13_47
.LBB13_46:                              ;   in Loop: Header=BB13_40 Depth=2
	s_and_not1_saveexec_b32 s24, s24
.LBB13_47:                              ;   in Loop: Header=BB13_40 Depth=2
	v_min_i32_e32 v6, v8, v6
; %bb.48:                               ;   in Loop: Header=BB13_40 Depth=2
	s_or_b32 exec_lo, exec_lo, s24
	s_mov_b32 s25, -1
                                        ; implicit-def: $vgpr8
	s_and_saveexec_b32 s24, s1
	s_cbranch_execz .LBB13_39
; %bb.49:                               ;   in Loop: Header=BB13_40 Depth=2
	v_dual_mov_b32 v7, v21 :: v_dual_add_nc_u32 v8, 1, v7
	v_add_co_u32 v18, s1, v18, 4
	s_delay_alu instid0(VALU_DEP_1) | instskip(NEXT) | instid1(VALU_DEP_3)
	v_add_co_ci_u32_e64 v19, s1, 0, v19, s1
	v_cmp_ge_i32_e32 vcc_lo, v8, v21
	s_add_i32 s23, s23, s8
	s_or_not1_b32 s25, vcc_lo, exec_lo
	s_branch .LBB13_39
.LBB13_50:                              ;   in Loop: Header=BB13_40 Depth=2
	s_branch .LBB13_44
.LBB13_51:                              ;   in Loop: Header=BB13_22 Depth=1
	s_or_b32 exec_lo, exec_lo, s22
	v_mov_b32_e32 v7, v10
.LBB13_52:                              ;   in Loop: Header=BB13_22 Depth=1
	s_or_b32 exec_lo, exec_lo, s9
	s_waitcnt lgkmcnt(0)
	s_barrier
	buffer_gl0_inv
	ds_load_b32 v8, v23
	s_mov_b32 s1, exec_lo
	s_waitcnt lgkmcnt(0)
	v_cmpx_ne_u32_e32 0, v8
	s_cbranch_execz .LBB13_21
; %bb.53:                               ;   in Loop: Header=BB13_22 Depth=1
	v_ashrrev_i32_e32 v10, 31, v9
	v_add_nc_u32_e32 v8, s6, v29
	s_delay_alu instid0(VALU_DEP_2) | instskip(NEXT) | instid1(VALU_DEP_1)
	v_lshlrev_b64 v[16:17], 2, v[9:10]
	v_add_co_u32 v16, vcc_lo, s12, v16
	s_delay_alu instid0(VALU_DEP_2)
	v_add_co_ci_u32_e32 v17, vcc_lo, s13, v17, vcc_lo
	global_store_b32 v[16:17], v8, off
	s_and_b32 exec_lo, exec_lo, s0
	s_cbranch_execz .LBB13_21
; %bb.54:                               ;   in Loop: Header=BB13_22 Depth=1
	v_mad_u64_u32 v[16:17], null, v9, s11, v[0:1]
	ds_load_b64 v[29:30], v27
	v_mad_u64_u32 v[17:18], null, v16, s11, v[15:16]
	s_delay_alu instid0(VALU_DEP_1) | instskip(NEXT) | instid1(VALU_DEP_1)
	v_ashrrev_i32_e32 v18, 31, v17
	v_lshlrev_b64 v[16:17], 3, v[17:18]
	s_delay_alu instid0(VALU_DEP_1) | instskip(NEXT) | instid1(VALU_DEP_2)
	v_add_co_u32 v16, vcc_lo, s14, v16
	v_add_co_ci_u32_e32 v17, vcc_lo, s15, v17, vcc_lo
	s_waitcnt lgkmcnt(0)
	global_store_b64 v[16:17], v[29:30], off
	s_branch .LBB13_21
	.section	.rodata,"a",@progbits
	.p2align	6, 0x0
	.amdhsa_kernel _ZN9rocsparseL35bsrgeam_wf_per_row_multipass_kernelILj64ELj8EdEEv20rocsparse_direction_iiiNS_24const_host_device_scalarIT1_EEPKiS6_PKS3_S4_S6_S6_S8_S6_PiPS3_21rocsparse_index_base_SB_SB_b
		.amdhsa_group_segment_fixed_size 520
		.amdhsa_private_segment_fixed_size 0
		.amdhsa_kernarg_size 120
		.amdhsa_user_sgpr_count 15
		.amdhsa_user_sgpr_dispatch_ptr 0
		.amdhsa_user_sgpr_queue_ptr 0
		.amdhsa_user_sgpr_kernarg_segment_ptr 1
		.amdhsa_user_sgpr_dispatch_id 0
		.amdhsa_user_sgpr_private_segment_size 0
		.amdhsa_wavefront_size32 1
		.amdhsa_uses_dynamic_stack 0
		.amdhsa_enable_private_segment 0
		.amdhsa_system_sgpr_workgroup_id_x 1
		.amdhsa_system_sgpr_workgroup_id_y 0
		.amdhsa_system_sgpr_workgroup_id_z 0
		.amdhsa_system_sgpr_workgroup_info 0
		.amdhsa_system_vgpr_workitem_id 0
		.amdhsa_next_free_vgpr 34
		.amdhsa_next_free_sgpr 26
		.amdhsa_reserve_vcc 1
		.amdhsa_float_round_mode_32 0
		.amdhsa_float_round_mode_16_64 0
		.amdhsa_float_denorm_mode_32 3
		.amdhsa_float_denorm_mode_16_64 3
		.amdhsa_dx10_clamp 1
		.amdhsa_ieee_mode 1
		.amdhsa_fp16_overflow 0
		.amdhsa_workgroup_processor_mode 1
		.amdhsa_memory_ordered 1
		.amdhsa_forward_progress 0
		.amdhsa_shared_vgpr_count 0
		.amdhsa_exception_fp_ieee_invalid_op 0
		.amdhsa_exception_fp_denorm_src 0
		.amdhsa_exception_fp_ieee_div_zero 0
		.amdhsa_exception_fp_ieee_overflow 0
		.amdhsa_exception_fp_ieee_underflow 0
		.amdhsa_exception_fp_ieee_inexact 0
		.amdhsa_exception_int_div_zero 0
	.end_amdhsa_kernel
	.section	.text._ZN9rocsparseL35bsrgeam_wf_per_row_multipass_kernelILj64ELj8EdEEv20rocsparse_direction_iiiNS_24const_host_device_scalarIT1_EEPKiS6_PKS3_S4_S6_S6_S8_S6_PiPS3_21rocsparse_index_base_SB_SB_b,"axG",@progbits,_ZN9rocsparseL35bsrgeam_wf_per_row_multipass_kernelILj64ELj8EdEEv20rocsparse_direction_iiiNS_24const_host_device_scalarIT1_EEPKiS6_PKS3_S4_S6_S6_S8_S6_PiPS3_21rocsparse_index_base_SB_SB_b,comdat
.Lfunc_end13:
	.size	_ZN9rocsparseL35bsrgeam_wf_per_row_multipass_kernelILj64ELj8EdEEv20rocsparse_direction_iiiNS_24const_host_device_scalarIT1_EEPKiS6_PKS3_S4_S6_S6_S8_S6_PiPS3_21rocsparse_index_base_SB_SB_b, .Lfunc_end13-_ZN9rocsparseL35bsrgeam_wf_per_row_multipass_kernelILj64ELj8EdEEv20rocsparse_direction_iiiNS_24const_host_device_scalarIT1_EEPKiS6_PKS3_S4_S6_S6_S8_S6_PiPS3_21rocsparse_index_base_SB_SB_b
                                        ; -- End function
	.section	.AMDGPU.csdata,"",@progbits
; Kernel info:
; codeLenInByte = 2064
; NumSgprs: 28
; NumVgprs: 34
; ScratchSize: 0
; MemoryBound: 0
; FloatMode: 240
; IeeeMode: 1
; LDSByteSize: 520 bytes/workgroup (compile time only)
; SGPRBlocks: 3
; VGPRBlocks: 4
; NumSGPRsForWavesPerEU: 28
; NumVGPRsForWavesPerEU: 34
; Occupancy: 16
; WaveLimiterHint : 1
; COMPUTE_PGM_RSRC2:SCRATCH_EN: 0
; COMPUTE_PGM_RSRC2:USER_SGPR: 15
; COMPUTE_PGM_RSRC2:TRAP_HANDLER: 0
; COMPUTE_PGM_RSRC2:TGID_X_EN: 1
; COMPUTE_PGM_RSRC2:TGID_Y_EN: 0
; COMPUTE_PGM_RSRC2:TGID_Z_EN: 0
; COMPUTE_PGM_RSRC2:TIDIG_COMP_CNT: 0
	.section	.text._ZN9rocsparseL39bsrgeam_block_per_row_multipass_kernel2ILj256ELj16EdEEv20rocsparse_direction_iiiNS_24const_host_device_scalarIT1_EEPKiS6_PKS3_S4_S6_S6_S8_S6_PiPS3_21rocsparse_index_base_SB_SB_b,"axG",@progbits,_ZN9rocsparseL39bsrgeam_block_per_row_multipass_kernel2ILj256ELj16EdEEv20rocsparse_direction_iiiNS_24const_host_device_scalarIT1_EEPKiS6_PKS3_S4_S6_S6_S8_S6_PiPS3_21rocsparse_index_base_SB_SB_b,comdat
	.globl	_ZN9rocsparseL39bsrgeam_block_per_row_multipass_kernel2ILj256ELj16EdEEv20rocsparse_direction_iiiNS_24const_host_device_scalarIT1_EEPKiS6_PKS3_S4_S6_S6_S8_S6_PiPS3_21rocsparse_index_base_SB_SB_b ; -- Begin function _ZN9rocsparseL39bsrgeam_block_per_row_multipass_kernel2ILj256ELj16EdEEv20rocsparse_direction_iiiNS_24const_host_device_scalarIT1_EEPKiS6_PKS3_S4_S6_S6_S8_S6_PiPS3_21rocsparse_index_base_SB_SB_b
	.p2align	8
	.type	_ZN9rocsparseL39bsrgeam_block_per_row_multipass_kernel2ILj256ELj16EdEEv20rocsparse_direction_iiiNS_24const_host_device_scalarIT1_EEPKiS6_PKS3_S4_S6_S6_S8_S6_PiPS3_21rocsparse_index_base_SB_SB_b,@function
_ZN9rocsparseL39bsrgeam_block_per_row_multipass_kernel2ILj256ELj16EdEEv20rocsparse_direction_iiiNS_24const_host_device_scalarIT1_EEPKiS6_PKS3_S4_S6_S6_S8_S6_PiPS3_21rocsparse_index_base_SB_SB_b: ; @_ZN9rocsparseL39bsrgeam_block_per_row_multipass_kernel2ILj256ELj16EdEEv20rocsparse_direction_iiiNS_24const_host_device_scalarIT1_EEPKiS6_PKS3_S4_S6_S6_S8_S6_PiPS3_21rocsparse_index_base_SB_SB_b
; %bb.0:
	s_mov_b32 s18, s15
	s_clause 0x3
	s_load_b128 s[4:7], s[0:1], 0x68
	s_load_b128 s[12:15], s[0:1], 0x10
	s_load_b64 s[16:17], s[0:1], 0x50
	s_load_b128 s[8:11], s[0:1], 0x30
	s_waitcnt lgkmcnt(0)
	s_bitcmp1_b32 s7, 0
	v_dual_mov_b32 v1, s12 :: v_dual_mov_b32 v2, s13
	s_cselect_b32 s2, -1, 0
	s_delay_alu instid0(SALU_CYCLE_1)
	s_and_b32 vcc_lo, exec_lo, s2
	s_xor_b32 s7, s2, -1
	s_cbranch_vccnz .LBB14_2
; %bb.1:
	v_dual_mov_b32 v1, s12 :: v_dual_mov_b32 v2, s13
	flat_load_b64 v[1:2], v[1:2]
.LBB14_2:
	s_load_b64 s[2:3], s[0:1], 0x20
	v_dual_mov_b32 v3, s8 :: v_dual_mov_b32 v4, s9
	s_and_not1_b32 vcc_lo, exec_lo, s7
	s_cbranch_vccnz .LBB14_4
; %bb.3:
	v_dual_mov_b32 v3, s8 :: v_dual_mov_b32 v4, s9
	flat_load_b64 v[3:4], v[3:4]
.LBB14_4:
	s_ashr_i32 s19, s18, 31
	s_delay_alu instid0(SALU_CYCLE_1) | instskip(NEXT) | instid1(SALU_CYCLE_1)
	s_lshl_b64 s[8:9], s[18:19], 2
	s_add_u32 s12, s14, s8
	s_addc_u32 s13, s15, s9
	s_load_b64 s[20:21], s[12:13], 0x0
	s_load_b64 s[12:13], s[0:1], 0x8
	s_waitcnt lgkmcnt(0)
	s_sub_i32 s22, s20, s4
	s_add_u32 s10, s10, s8
	s_addc_u32 s11, s11, s9
	s_load_b64 s[14:15], s[0:1], 0x40
	s_load_b64 s[24:25], s[10:11], 0x0
	s_add_u32 s26, s16, s8
	s_addc_u32 s27, s17, s9
	s_cmp_ge_i32 s20, s21
	s_mov_b32 s23, s12
	s_cbranch_scc1 .LBB14_6
; %bb.5:
	s_ashr_i32 s23, s22, 31
	s_delay_alu instid0(SALU_CYCLE_1) | instskip(NEXT) | instid1(SALU_CYCLE_1)
	s_lshl_b64 s[8:9], s[22:23], 2
	s_add_u32 s8, s2, s8
	s_addc_u32 s9, s3, s9
	s_load_b32 s7, s[8:9], 0x0
	s_waitcnt lgkmcnt(0)
	s_sub_i32 s23, s7, s4
.LBB14_6:
	s_clause 0x2
	s_load_b128 s[8:11], s[0:1], 0x58
	s_load_b64 s[16:17], s[0:1], 0x28
	s_load_b64 s[18:19], s[0:1], 0x48
	s_load_b32 s20, s[26:27], 0x0
	s_waitcnt lgkmcnt(0)
	s_sub_i32 s26, s24, s5
	s_cmp_ge_i32 s24, s25
	s_mov_b32 s24, s12
	s_cbranch_scc1 .LBB14_8
; %bb.7:
	s_ashr_i32 s27, s26, 31
	s_delay_alu instid0(SALU_CYCLE_1) | instskip(NEXT) | instid1(SALU_CYCLE_1)
	s_lshl_b64 s[28:29], s[26:27], 2
	s_add_u32 s28, s14, s28
	s_addc_u32 s29, s15, s29
	s_load_b32 s7, s[28:29], 0x0
	s_waitcnt lgkmcnt(0)
	s_sub_i32 s24, s7, s5
.LBB14_8:
	s_load_b32 s27, s[0:1], 0x0
	v_dual_mov_b32 v10, s22 :: v_dual_and_b32 v5, 15, v0
	v_lshrrev_b32_e32 v6, 4, v0
	s_sub_i32 s1, s21, s4
	s_sub_i32 s7, s25, s5
	s_delay_alu instid0(VALU_DEP_2)
	v_cmp_gt_u32_e32 vcc_lo, s13, v5
	s_sub_i32 s20, s20, s6
	v_cmp_gt_i32_e64 s0, s13, v6
	s_min_i32 s21, s24, s23
	v_mov_b32_e32 v7, s26
	s_mov_b32 s23, 0
	s_mul_i32 s25, s13, s13
	s_and_b32 s22, vcc_lo, s0
	v_mov_b32_e32 v22, 1
	s_waitcnt lgkmcnt(0)
	s_cmp_eq_u32 s27, 0
	s_cselect_b32 vcc_lo, -1, 0
	v_mov_b32_e32 v9, 0
	v_lshlrev_b32_e32 v19, 3, v0
	v_dual_mov_b32 v23, s21 :: v_dual_lshlrev_b32 v0, 3, v6
	v_cndmask_b32_e32 v14, v6, v5, vcc_lo
	s_cmp_lg_u32 s27, 0
	s_delay_alu instid0(VALU_DEP_2)
	v_lshl_or_b32 v20, v5, 7, v0
	v_cndmask_b32_e32 v0, v5, v6, vcc_lo
	v_mov_b32_e32 v12, v9
	v_mov_b32_e32 v13, v9
	s_cselect_b32 s24, -1, 0
	v_cndmask_b32_e32 v21, v20, v19, vcc_lo
	s_branch .LBB14_11
.LBB14_9:                               ;   in Loop: Header=BB14_11 Depth=1
	s_or_b32 exec_lo, exec_lo, s0
.LBB14_10:                              ;   in Loop: Header=BB14_11 Depth=1
	s_waitcnt_vscnt null, 0x0
	s_barrier
	buffer_gl0_inv
	ds_load_b32 v8, v9 offset:2048
	v_cmp_le_i32_e32 vcc_lo, s12, v11
	v_mov_b32_e32 v23, v11
	s_waitcnt lgkmcnt(0)
	s_barrier
	buffer_gl0_inv
	v_readfirstlane_b32 s0, v8
	s_delay_alu instid0(VALU_DEP_1) | instskip(SKIP_1) | instid1(SALU_CYCLE_1)
	s_add_i32 s20, s0, s20
	s_or_b32 s23, vcc_lo, s23
	s_and_not1_b32 exec_lo, exec_lo, s23
	s_cbranch_execz .LBB14_44
.LBB14_11:                              ; =>This Loop Header: Depth=1
                                        ;     Child Loop BB14_14 Depth 2
                                        ;     Child Loop BB14_29 Depth 2
	v_mov_b32_e32 v11, s12
	s_mov_b32 s21, exec_lo
	ds_store_b32 v9, v9 offset:2048
	ds_store_b64 v19, v[12:13]
	s_waitcnt vmcnt(0) lgkmcnt(0)
	s_barrier
	buffer_gl0_inv
	v_cmpx_gt_i32_e64 s1, v10
	s_cbranch_execz .LBB14_26
; %bb.12:                               ;   in Loop: Header=BB14_11 Depth=1
	v_mul_lo_u32 v8, s13, v10
	v_ashrrev_i32_e32 v11, 31, v10
	s_mov_b32 s26, 0
	s_mov_b32 s27, 0
	s_delay_alu instid0(VALU_DEP_1) | instskip(SKIP_1) | instid1(VALU_DEP_4)
	v_lshlrev_b64 v[24:25], 2, v[10:11]
	v_mov_b32_e32 v11, s12
	v_add_nc_u32_e32 v17, v6, v8
	v_add_nc_u32_e32 v8, v5, v8
	s_delay_alu instid0(VALU_DEP_2) | instskip(NEXT) | instid1(VALU_DEP_2)
	v_mad_u64_u32 v[15:16], null, s13, v17, v[5:6]
	v_mad_u64_u32 v[16:17], null, s13, v8, v[6:7]
	v_add_co_u32 v17, vcc_lo, s2, v24
	v_add_co_ci_u32_e32 v18, vcc_lo, s3, v25, vcc_lo
	s_branch .LBB14_14
.LBB14_13:                              ;   in Loop: Header=BB14_14 Depth=2
	s_or_b32 exec_lo, exec_lo, s29
	s_delay_alu instid0(SALU_CYCLE_1) | instskip(NEXT) | instid1(SALU_CYCLE_1)
	s_and_b32 s0, exec_lo, s28
	s_or_b32 s26, s0, s26
	s_delay_alu instid0(SALU_CYCLE_1)
	s_and_not1_b32 exec_lo, exec_lo, s26
	s_cbranch_execz .LBB14_25
.LBB14_14:                              ;   Parent Loop BB14_11 Depth=1
                                        ; =>  This Inner Loop Header: Depth=2
	global_load_b32 v8, v[17:18], off
	s_mov_b32 s28, exec_lo
	s_waitcnt vmcnt(0)
	v_subrev_nc_u32_e32 v8, s4, v8
	s_delay_alu instid0(VALU_DEP_1)
	v_cmp_eq_u32_e64 s0, v8, v23
	v_cmpx_ne_u32_e64 v8, v23
	s_xor_b32 s28, exec_lo, s28
	s_cbranch_execnz .LBB14_17
; %bb.15:                               ;   in Loop: Header=BB14_14 Depth=2
	s_and_not1_saveexec_b32 s28, s28
	s_cbranch_execnz .LBB14_18
.LBB14_16:                              ;   in Loop: Header=BB14_14 Depth=2
	s_or_b32 exec_lo, exec_lo, s28
	s_mov_b32 s28, -1
	s_and_saveexec_b32 s29, s0
	s_cbranch_execz .LBB14_13
	s_branch .LBB14_24
.LBB14_17:                              ;   in Loop: Header=BB14_14 Depth=2
	v_min_i32_e32 v11, v8, v11
	s_and_not1_saveexec_b32 s28, s28
	s_cbranch_execz .LBB14_16
.LBB14_18:                              ;   in Loop: Header=BB14_14 Depth=2
	ds_store_b32 v9, v22 offset:2048
	s_and_saveexec_b32 s29, s22
	s_cbranch_execz .LBB14_23
; %bb.19:                               ;   in Loop: Header=BB14_14 Depth=2
	s_and_b32 vcc_lo, exec_lo, s24
	s_cbranch_vccz .LBB14_21
; %bb.20:                               ;   in Loop: Header=BB14_14 Depth=2
	v_add_nc_u32_e32 v8, s27, v16
	s_delay_alu instid0(VALU_DEP_1) | instskip(NEXT) | instid1(VALU_DEP_1)
	v_lshlrev_b64 v[24:25], 3, v[8:9]
	v_add_co_u32 v24, vcc_lo, s16, v24
	s_delay_alu instid0(VALU_DEP_2)
	v_add_co_ci_u32_e32 v25, vcc_lo, s17, v25, vcc_lo
	global_load_b64 v[24:25], v[24:25], off
	s_waitcnt vmcnt(0)
	v_mul_f64 v[24:25], v[1:2], v[24:25]
	ds_store_b64 v20, v[24:25]
	s_cbranch_execz .LBB14_22
	s_branch .LBB14_23
.LBB14_21:                              ;   in Loop: Header=BB14_14 Depth=2
.LBB14_22:                              ;   in Loop: Header=BB14_14 Depth=2
	v_add_nc_u32_e32 v8, s27, v15
	s_delay_alu instid0(VALU_DEP_1) | instskip(NEXT) | instid1(VALU_DEP_1)
	v_lshlrev_b64 v[24:25], 3, v[8:9]
	v_add_co_u32 v24, vcc_lo, s16, v24
	s_delay_alu instid0(VALU_DEP_2)
	v_add_co_ci_u32_e32 v25, vcc_lo, s17, v25, vcc_lo
	global_load_b64 v[24:25], v[24:25], off
	s_waitcnt vmcnt(0)
	v_mul_f64 v[24:25], v[1:2], v[24:25]
	ds_store_b64 v19, v[24:25]
.LBB14_23:                              ;   in Loop: Header=BB14_14 Depth=2
	s_or_b32 exec_lo, exec_lo, s29
	s_delay_alu instid0(SALU_CYCLE_1)
	s_or_b32 exec_lo, exec_lo, s28
	s_mov_b32 s28, -1
	s_and_saveexec_b32 s29, s0
	s_cbranch_execz .LBB14_13
.LBB14_24:                              ;   in Loop: Header=BB14_14 Depth=2
	v_add_nc_u32_e32 v10, 1, v10
	v_add_co_u32 v17, s0, v17, 4
	s_delay_alu instid0(VALU_DEP_1) | instskip(NEXT) | instid1(VALU_DEP_3)
	v_add_co_ci_u32_e64 v18, s0, 0, v18, s0
	v_cmp_le_i32_e32 vcc_lo, s1, v10
	s_add_i32 s27, s27, s25
	s_or_not1_b32 s28, vcc_lo, exec_lo
	s_branch .LBB14_13
.LBB14_25:                              ;   in Loop: Header=BB14_11 Depth=1
	s_or_b32 exec_lo, exec_lo, s26
.LBB14_26:                              ;   in Loop: Header=BB14_11 Depth=1
	s_delay_alu instid0(SALU_CYCLE_1) | instskip(NEXT) | instid1(SALU_CYCLE_1)
	s_or_b32 exec_lo, exec_lo, s21
	s_mov_b32 s21, exec_lo
	s_waitcnt lgkmcnt(0)
	s_barrier
	buffer_gl0_inv
	v_cmpx_gt_i32_e64 s7, v7
	s_cbranch_execz .LBB14_41
; %bb.27:                               ;   in Loop: Header=BB14_11 Depth=1
	v_mul_lo_u32 v15, s13, v7
	v_ashrrev_i32_e32 v8, 31, v7
	s_mov_b32 s26, 0
	s_mov_b32 s27, 0
	s_delay_alu instid0(VALU_DEP_1) | instskip(NEXT) | instid1(VALU_DEP_3)
	v_lshlrev_b64 v[24:25], 2, v[7:8]
	v_add_nc_u32_e32 v17, v6, v15
	v_add_nc_u32_e32 v18, v5, v15
	s_delay_alu instid0(VALU_DEP_2) | instskip(NEXT) | instid1(VALU_DEP_2)
	v_mad_u64_u32 v[15:16], null, s13, v17, v[5:6]
	v_mad_u64_u32 v[16:17], null, s13, v18, v[6:7]
	v_add_co_u32 v17, vcc_lo, s14, v24
	v_add_co_ci_u32_e32 v18, vcc_lo, s15, v25, vcc_lo
	s_branch .LBB14_29
.LBB14_28:                              ;   in Loop: Header=BB14_29 Depth=2
	s_or_b32 exec_lo, exec_lo, s29
	s_delay_alu instid0(SALU_CYCLE_1) | instskip(NEXT) | instid1(SALU_CYCLE_1)
	s_and_b32 s0, exec_lo, s28
	s_or_b32 s26, s0, s26
	s_delay_alu instid0(SALU_CYCLE_1)
	s_and_not1_b32 exec_lo, exec_lo, s26
	s_cbranch_execz .LBB14_40
.LBB14_29:                              ;   Parent Loop BB14_11 Depth=1
                                        ; =>  This Inner Loop Header: Depth=2
	global_load_b32 v8, v[17:18], off
	s_mov_b32 s28, exec_lo
	s_waitcnt vmcnt(0)
	v_subrev_nc_u32_e32 v8, s5, v8
	s_delay_alu instid0(VALU_DEP_1)
	v_cmp_eq_u32_e64 s0, v8, v23
	v_cmpx_ne_u32_e64 v8, v23
	s_xor_b32 s28, exec_lo, s28
	s_cbranch_execnz .LBB14_32
; %bb.30:                               ;   in Loop: Header=BB14_29 Depth=2
	s_and_not1_saveexec_b32 s28, s28
	s_cbranch_execnz .LBB14_33
.LBB14_31:                              ;   in Loop: Header=BB14_29 Depth=2
	s_or_b32 exec_lo, exec_lo, s28
	s_mov_b32 s28, -1
	s_and_saveexec_b32 s29, s0
	s_cbranch_execz .LBB14_28
	s_branch .LBB14_39
.LBB14_32:                              ;   in Loop: Header=BB14_29 Depth=2
	v_min_i32_e32 v11, v8, v11
	s_and_not1_saveexec_b32 s28, s28
	s_cbranch_execz .LBB14_31
.LBB14_33:                              ;   in Loop: Header=BB14_29 Depth=2
	ds_store_b32 v9, v22 offset:2048
	s_and_saveexec_b32 s29, s22
	s_cbranch_execz .LBB14_38
; %bb.34:                               ;   in Loop: Header=BB14_29 Depth=2
	s_and_b32 vcc_lo, exec_lo, s24
	s_cbranch_vccz .LBB14_36
; %bb.35:                               ;   in Loop: Header=BB14_29 Depth=2
	v_add_nc_u32_e32 v8, s27, v16
	ds_load_b64 v[26:27], v20
	v_lshlrev_b64 v[24:25], 3, v[8:9]
	s_delay_alu instid0(VALU_DEP_1) | instskip(NEXT) | instid1(VALU_DEP_2)
	v_add_co_u32 v24, vcc_lo, s18, v24
	v_add_co_ci_u32_e32 v25, vcc_lo, s19, v25, vcc_lo
	global_load_b64 v[24:25], v[24:25], off
	s_waitcnt vmcnt(0) lgkmcnt(0)
	v_fma_f64 v[24:25], v[3:4], v[24:25], v[26:27]
	ds_store_b64 v20, v[24:25]
	s_cbranch_execz .LBB14_37
	s_branch .LBB14_38
.LBB14_36:                              ;   in Loop: Header=BB14_29 Depth=2
.LBB14_37:                              ;   in Loop: Header=BB14_29 Depth=2
	v_add_nc_u32_e32 v8, s27, v15
	ds_load_b64 v[26:27], v19
	v_lshlrev_b64 v[24:25], 3, v[8:9]
	s_delay_alu instid0(VALU_DEP_1) | instskip(NEXT) | instid1(VALU_DEP_2)
	v_add_co_u32 v24, vcc_lo, s18, v24
	v_add_co_ci_u32_e32 v25, vcc_lo, s19, v25, vcc_lo
	global_load_b64 v[24:25], v[24:25], off
	s_waitcnt vmcnt(0) lgkmcnt(0)
	v_fma_f64 v[24:25], v[3:4], v[24:25], v[26:27]
	ds_store_b64 v19, v[24:25]
.LBB14_38:                              ;   in Loop: Header=BB14_29 Depth=2
	s_or_b32 exec_lo, exec_lo, s29
	s_delay_alu instid0(SALU_CYCLE_1)
	s_or_b32 exec_lo, exec_lo, s28
	s_mov_b32 s28, -1
	s_and_saveexec_b32 s29, s0
	s_cbranch_execz .LBB14_28
.LBB14_39:                              ;   in Loop: Header=BB14_29 Depth=2
	v_add_nc_u32_e32 v7, 1, v7
	v_add_co_u32 v17, s0, v17, 4
	s_delay_alu instid0(VALU_DEP_1) | instskip(NEXT) | instid1(VALU_DEP_3)
	v_add_co_ci_u32_e64 v18, s0, 0, v18, s0
	v_cmp_le_i32_e32 vcc_lo, s7, v7
	s_add_i32 s27, s27, s25
	s_or_not1_b32 s28, vcc_lo, exec_lo
	s_branch .LBB14_28
.LBB14_40:                              ;   in Loop: Header=BB14_11 Depth=1
	s_or_b32 exec_lo, exec_lo, s26
.LBB14_41:                              ;   in Loop: Header=BB14_11 Depth=1
	s_delay_alu instid0(SALU_CYCLE_1)
	s_or_b32 exec_lo, exec_lo, s21
	s_waitcnt lgkmcnt(0)
	s_barrier
	buffer_gl0_inv
	ds_load_b32 v8, v9 offset:2048
	s_waitcnt lgkmcnt(0)
	v_cmp_eq_u32_e32 vcc_lo, 0, v8
	s_cbranch_vccnz .LBB14_10
; %bb.42:                               ;   in Loop: Header=BB14_11 Depth=1
	s_ashr_i32 s21, s20, 31
	v_add_nc_u32_e32 v8, s6, v23
	s_lshl_b64 s[26:27], s[20:21], 2
	s_delay_alu instid0(SALU_CYCLE_1)
	s_add_u32 s26, s8, s26
	s_addc_u32 s27, s9, s27
	global_store_b32 v9, v8, s[26:27]
	s_and_saveexec_b32 s0, s22
	s_cbranch_execz .LBB14_9
; %bb.43:                               ;   in Loop: Header=BB14_11 Depth=1
	v_mad_u64_u32 v[15:16], null, s20, s13, v[0:1]
	ds_load_b64 v[23:24], v21
	v_mad_u64_u32 v[16:17], null, v15, s13, v[14:15]
	v_mov_b32_e32 v17, v9
	s_delay_alu instid0(VALU_DEP_1) | instskip(NEXT) | instid1(VALU_DEP_1)
	v_lshlrev_b64 v[15:16], 3, v[16:17]
	v_add_co_u32 v15, vcc_lo, s10, v15
	s_delay_alu instid0(VALU_DEP_2)
	v_add_co_ci_u32_e32 v16, vcc_lo, s11, v16, vcc_lo
	s_waitcnt lgkmcnt(0)
	global_store_b64 v[15:16], v[23:24], off
	s_branch .LBB14_9
.LBB14_44:
	s_endpgm
	.section	.rodata,"a",@progbits
	.p2align	6, 0x0
	.amdhsa_kernel _ZN9rocsparseL39bsrgeam_block_per_row_multipass_kernel2ILj256ELj16EdEEv20rocsparse_direction_iiiNS_24const_host_device_scalarIT1_EEPKiS6_PKS3_S4_S6_S6_S8_S6_PiPS3_21rocsparse_index_base_SB_SB_b
		.amdhsa_group_segment_fixed_size 2056
		.amdhsa_private_segment_fixed_size 0
		.amdhsa_kernarg_size 120
		.amdhsa_user_sgpr_count 15
		.amdhsa_user_sgpr_dispatch_ptr 0
		.amdhsa_user_sgpr_queue_ptr 0
		.amdhsa_user_sgpr_kernarg_segment_ptr 1
		.amdhsa_user_sgpr_dispatch_id 0
		.amdhsa_user_sgpr_private_segment_size 0
		.amdhsa_wavefront_size32 1
		.amdhsa_uses_dynamic_stack 0
		.amdhsa_enable_private_segment 0
		.amdhsa_system_sgpr_workgroup_id_x 1
		.amdhsa_system_sgpr_workgroup_id_y 0
		.amdhsa_system_sgpr_workgroup_id_z 0
		.amdhsa_system_sgpr_workgroup_info 0
		.amdhsa_system_vgpr_workitem_id 0
		.amdhsa_next_free_vgpr 28
		.amdhsa_next_free_sgpr 30
		.amdhsa_reserve_vcc 1
		.amdhsa_float_round_mode_32 0
		.amdhsa_float_round_mode_16_64 0
		.amdhsa_float_denorm_mode_32 3
		.amdhsa_float_denorm_mode_16_64 3
		.amdhsa_dx10_clamp 1
		.amdhsa_ieee_mode 1
		.amdhsa_fp16_overflow 0
		.amdhsa_workgroup_processor_mode 1
		.amdhsa_memory_ordered 1
		.amdhsa_forward_progress 0
		.amdhsa_shared_vgpr_count 0
		.amdhsa_exception_fp_ieee_invalid_op 0
		.amdhsa_exception_fp_denorm_src 0
		.amdhsa_exception_fp_ieee_div_zero 0
		.amdhsa_exception_fp_ieee_overflow 0
		.amdhsa_exception_fp_ieee_underflow 0
		.amdhsa_exception_fp_ieee_inexact 0
		.amdhsa_exception_int_div_zero 0
	.end_amdhsa_kernel
	.section	.text._ZN9rocsparseL39bsrgeam_block_per_row_multipass_kernel2ILj256ELj16EdEEv20rocsparse_direction_iiiNS_24const_host_device_scalarIT1_EEPKiS6_PKS3_S4_S6_S6_S8_S6_PiPS3_21rocsparse_index_base_SB_SB_b,"axG",@progbits,_ZN9rocsparseL39bsrgeam_block_per_row_multipass_kernel2ILj256ELj16EdEEv20rocsparse_direction_iiiNS_24const_host_device_scalarIT1_EEPKiS6_PKS3_S4_S6_S6_S8_S6_PiPS3_21rocsparse_index_base_SB_SB_b,comdat
.Lfunc_end14:
	.size	_ZN9rocsparseL39bsrgeam_block_per_row_multipass_kernel2ILj256ELj16EdEEv20rocsparse_direction_iiiNS_24const_host_device_scalarIT1_EEPKiS6_PKS3_S4_S6_S6_S8_S6_PiPS3_21rocsparse_index_base_SB_SB_b, .Lfunc_end14-_ZN9rocsparseL39bsrgeam_block_per_row_multipass_kernel2ILj256ELj16EdEEv20rocsparse_direction_iiiNS_24const_host_device_scalarIT1_EEPKiS6_PKS3_S4_S6_S6_S8_S6_PiPS3_21rocsparse_index_base_SB_SB_b
                                        ; -- End function
	.section	.AMDGPU.csdata,"",@progbits
; Kernel info:
; codeLenInByte = 1656
; NumSgprs: 32
; NumVgprs: 28
; ScratchSize: 0
; MemoryBound: 0
; FloatMode: 240
; IeeeMode: 1
; LDSByteSize: 2056 bytes/workgroup (compile time only)
; SGPRBlocks: 3
; VGPRBlocks: 3
; NumSGPRsForWavesPerEU: 32
; NumVGPRsForWavesPerEU: 28
; Occupancy: 16
; WaveLimiterHint : 1
; COMPUTE_PGM_RSRC2:SCRATCH_EN: 0
; COMPUTE_PGM_RSRC2:USER_SGPR: 15
; COMPUTE_PGM_RSRC2:TRAP_HANDLER: 0
; COMPUTE_PGM_RSRC2:TGID_X_EN: 1
; COMPUTE_PGM_RSRC2:TGID_Y_EN: 0
; COMPUTE_PGM_RSRC2:TGID_Z_EN: 0
; COMPUTE_PGM_RSRC2:TIDIG_COMP_CNT: 0
	.section	.text._ZN9rocsparseL39bsrgeam_block_per_row_multipass_kernel2ILj256ELj32EdEEv20rocsparse_direction_iiiNS_24const_host_device_scalarIT1_EEPKiS6_PKS3_S4_S6_S6_S8_S6_PiPS3_21rocsparse_index_base_SB_SB_b,"axG",@progbits,_ZN9rocsparseL39bsrgeam_block_per_row_multipass_kernel2ILj256ELj32EdEEv20rocsparse_direction_iiiNS_24const_host_device_scalarIT1_EEPKiS6_PKS3_S4_S6_S6_S8_S6_PiPS3_21rocsparse_index_base_SB_SB_b,comdat
	.globl	_ZN9rocsparseL39bsrgeam_block_per_row_multipass_kernel2ILj256ELj32EdEEv20rocsparse_direction_iiiNS_24const_host_device_scalarIT1_EEPKiS6_PKS3_S4_S6_S6_S8_S6_PiPS3_21rocsparse_index_base_SB_SB_b ; -- Begin function _ZN9rocsparseL39bsrgeam_block_per_row_multipass_kernel2ILj256ELj32EdEEv20rocsparse_direction_iiiNS_24const_host_device_scalarIT1_EEPKiS6_PKS3_S4_S6_S6_S8_S6_PiPS3_21rocsparse_index_base_SB_SB_b
	.p2align	8
	.type	_ZN9rocsparseL39bsrgeam_block_per_row_multipass_kernel2ILj256ELj32EdEEv20rocsparse_direction_iiiNS_24const_host_device_scalarIT1_EEPKiS6_PKS3_S4_S6_S6_S8_S6_PiPS3_21rocsparse_index_base_SB_SB_b,@function
_ZN9rocsparseL39bsrgeam_block_per_row_multipass_kernel2ILj256ELj32EdEEv20rocsparse_direction_iiiNS_24const_host_device_scalarIT1_EEPKiS6_PKS3_S4_S6_S6_S8_S6_PiPS3_21rocsparse_index_base_SB_SB_b: ; @_ZN9rocsparseL39bsrgeam_block_per_row_multipass_kernel2ILj256ELj32EdEEv20rocsparse_direction_iiiNS_24const_host_device_scalarIT1_EEPKiS6_PKS3_S4_S6_S6_S8_S6_PiPS3_21rocsparse_index_base_SB_SB_b
; %bb.0:
	s_mov_b32 s16, s15
	s_clause 0x3
	s_load_b128 s[4:7], s[0:1], 0x68
	s_load_b128 s[12:15], s[0:1], 0x10
	s_load_b64 s[18:19], s[0:1], 0x50
	s_load_b128 s[8:11], s[0:1], 0x30
	s_waitcnt lgkmcnt(0)
	s_bitcmp1_b32 s7, 0
	v_dual_mov_b32 v1, s12 :: v_dual_mov_b32 v2, s13
	s_cselect_b32 s2, -1, 0
	s_delay_alu instid0(SALU_CYCLE_1)
	s_and_b32 vcc_lo, exec_lo, s2
	s_xor_b32 s7, s2, -1
	s_cbranch_vccnz .LBB15_2
; %bb.1:
	v_dual_mov_b32 v1, s12 :: v_dual_mov_b32 v2, s13
	flat_load_b64 v[1:2], v[1:2]
.LBB15_2:
	s_load_b64 s[2:3], s[0:1], 0x20
	v_dual_mov_b32 v3, s8 :: v_dual_mov_b32 v4, s9
	s_and_not1_b32 vcc_lo, exec_lo, s7
	s_cbranch_vccnz .LBB15_4
; %bb.3:
	v_dual_mov_b32 v3, s8 :: v_dual_mov_b32 v4, s9
	flat_load_b64 v[3:4], v[3:4]
.LBB15_4:
	s_ashr_i32 s17, s16, 31
	s_delay_alu instid0(SALU_CYCLE_1) | instskip(NEXT) | instid1(SALU_CYCLE_1)
	s_lshl_b64 s[8:9], s[16:17], 2
	s_add_u32 s12, s14, s8
	s_addc_u32 s13, s15, s9
	s_load_b64 s[24:25], s[12:13], 0x0
	s_load_b64 s[12:13], s[0:1], 0x8
	s_waitcnt lgkmcnt(0)
	s_sub_i32 s14, s24, s4
	s_add_u32 s10, s10, s8
	s_addc_u32 s11, s11, s9
	s_load_b64 s[16:17], s[0:1], 0x40
	s_load_b64 s[26:27], s[10:11], 0x0
	s_add_u32 s22, s18, s8
	s_addc_u32 s23, s19, s9
	s_cmp_ge_i32 s24, s25
	s_mov_b32 s15, s12
	s_cbranch_scc1 .LBB15_6
; %bb.5:
	s_ashr_i32 s15, s14, 31
	s_delay_alu instid0(SALU_CYCLE_1) | instskip(NEXT) | instid1(SALU_CYCLE_1)
	s_lshl_b64 s[8:9], s[14:15], 2
	s_add_u32 s8, s2, s8
	s_addc_u32 s9, s3, s9
	s_load_b32 s7, s[8:9], 0x0
	s_waitcnt lgkmcnt(0)
	s_sub_i32 s15, s7, s4
.LBB15_6:
	s_clause 0x2
	s_load_b128 s[8:11], s[0:1], 0x58
	s_load_b64 s[18:19], s[0:1], 0x28
	s_load_b64 s[20:21], s[0:1], 0x48
	s_load_b32 s24, s[22:23], 0x0
	s_waitcnt lgkmcnt(0)
	s_sub_i32 s22, s26, s5
	s_cmp_ge_i32 s26, s27
	s_mov_b32 s23, s12
	s_cbranch_scc1 .LBB15_8
; %bb.7:
	s_ashr_i32 s23, s22, 31
	s_delay_alu instid0(SALU_CYCLE_1) | instskip(NEXT) | instid1(SALU_CYCLE_1)
	s_lshl_b64 s[28:29], s[22:23], 2
	s_add_u32 s28, s16, s28
	s_addc_u32 s29, s17, s29
	s_load_b32 s7, s[28:29], 0x0
	s_waitcnt lgkmcnt(0)
	s_sub_i32 s23, s7, s5
.LBB15_8:
	s_load_b32 s28, s[0:1], 0x0
	v_dual_mov_b32 v6, 0 :: v_dual_and_b32 v9, 7, v0
	v_lshrrev_b32_e32 v0, 3, v0
	s_mov_b32 s30, 0
	s_sub_i32 s7, s25, s4
	s_delay_alu instid0(VALU_DEP_2)
	v_or_b32_e32 v10, 8, v9
	s_mov_b32 s31, s30
	v_lshlrev_b32_e32 v5, 5, v0
	v_cmp_gt_i32_e32 vcc_lo, s13, v0
	v_cmp_gt_u32_e64 s0, s13, v9
	v_or_b32_e32 v12, 16, v9
	v_or_b32_e32 v14, 24, v9
	v_cmp_gt_u32_e64 s1, s13, v10
	v_dual_mov_b32 v7, s30 :: v_dual_mov_b32 v22, 1
	s_sub_i32 s26, s27, s5
	s_sub_i32 s24, s24, s6
	s_min_i32 s25, s23, s15
	v_mov_b32_e32 v8, s31
	v_or_b32_e32 v13, v5, v9
	s_waitcnt lgkmcnt(0)
	s_cmp_lg_u32 s28, 0
	v_lshl_or_b32 v11, v9, 5, v0
	s_cselect_b32 s27, -1, 0
	s_and_b32 s28, vcc_lo, s0
	s_and_b32 s29, vcc_lo, s1
	v_cmp_gt_u32_e64 s0, s13, v12
	v_cmp_gt_u32_e64 s1, s13, v14
	v_lshl_or_b32 v15, v10, 5, v0
	v_lshlrev_b32_e32 v16, 3, v13
	v_or_b32_e32 v17, v10, v5
	v_lshl_or_b32 v18, v12, 5, v0
	v_or_b32_e32 v19, v12, v5
	v_lshl_or_b32 v20, v14, 5, v0
	v_or_b32_e32 v21, v14, v5
	s_and_b32 s30, vcc_lo, s0
	s_and_b32 s31, vcc_lo, s1
	s_mul_i32 s33, s13, s13
	s_branch .LBB15_12
.LBB15_9:                               ;   in Loop: Header=BB15_12 Depth=1
	s_delay_alu instid0(VALU_DEP_1) | instskip(NEXT) | instid1(VALU_DEP_2)
	v_lshlrev_b32_e32 v23, 3, v24
	v_lshlrev_b64 v[25:26], 3, v[5:6]
	ds_load_b64 v[23:24], v23
	v_add_co_u32 v25, vcc_lo, s10, v25
	v_add_co_ci_u32_e32 v26, vcc_lo, s11, v26, vcc_lo
	s_waitcnt lgkmcnt(0)
	global_store_b64 v[25:26], v[23:24], off
.LBB15_10:                              ;   in Loop: Header=BB15_12 Depth=1
	s_or_b32 exec_lo, exec_lo, s1
.LBB15_11:                              ;   in Loop: Header=BB15_12 Depth=1
	s_waitcnt_vscnt null, 0x0
	s_barrier
	buffer_gl0_inv
	ds_load_b32 v5, v6 offset:8192
	s_mov_b32 s25, s23
	s_waitcnt lgkmcnt(0)
	s_barrier
	buffer_gl0_inv
	v_readfirstlane_b32 s0, v5
	s_delay_alu instid0(VALU_DEP_1)
	s_add_i32 s24, s0, s24
	s_cmp_lt_i32 s23, s12
	s_cbranch_scc0 .LBB15_104
.LBB15_12:                              ; =>This Loop Header: Depth=1
                                        ;     Child Loop BB15_15 Depth 2
                                        ;     Child Loop BB15_49 Depth 2
	s_cmp_ge_i32 s14, s7
	ds_store_b32 v6, v6 offset:8192
	ds_store_2addr_b64 v16, v[7:8], v[7:8] offset1:8
	ds_store_2addr_b64 v16, v[7:8], v[7:8] offset0:16 offset1:24
	s_waitcnt vmcnt(0) lgkmcnt(0)
	s_barrier
	buffer_gl0_inv
	s_cbranch_scc1 .LBB15_45
; %bb.13:                               ;   in Loop: Header=BB15_12 Depth=1
	s_mul_i32 s0, s13, s14
	s_ashr_i32 s15, s14, 31
	v_add_nc_u32_e32 v5, s0, v9
	v_dual_mov_b32 v27, v0 :: v_dual_add_nc_u32 v24, s0, v10
	v_add_nc_u32_e32 v25, s0, v12
	v_add_nc_u32_e32 v26, s0, v14
	s_delay_alu instid0(VALU_DEP_4) | instskip(NEXT) | instid1(VALU_DEP_4)
	v_mul_lo_u32 v23, s13, v5
	v_mul_lo_u32 v24, s13, v24
	s_lshl_b64 s[0:1], s[14:15], 2
	v_mul_lo_u32 v25, s13, v25
	v_mul_lo_u32 v26, s13, v26
	s_add_u32 s0, s2, s0
	s_addc_u32 s1, s3, s1
	s_mov_b32 s23, s12
	s_branch .LBB15_15
.LBB15_14:                              ;   in Loop: Header=BB15_15 Depth=2
	s_add_i32 s14, s14, 1
	s_add_u32 s0, s0, 4
	v_add_nc_u32_e32 v27, s33, v27
	s_addc_u32 s1, s1, 0
	s_cmp_ge_i32 s14, s7
	s_cselect_b32 s23, -1, 0
	s_delay_alu instid0(SALU_CYCLE_1)
	s_and_not1_b32 vcc_lo, exec_lo, s23
	s_mov_b32 s23, s15
	s_cbranch_vccz .LBB15_46
.LBB15_15:                              ;   Parent Loop BB15_12 Depth=1
                                        ; =>  This Inner Loop Header: Depth=2
	s_load_b32 s15, s[0:1], 0x0
	s_mov_b32 s35, -1
	s_waitcnt lgkmcnt(0)
	s_sub_i32 s36, s15, s4
                                        ; implicit-def: $sgpr15
	s_delay_alu instid0(SALU_CYCLE_1)
	s_cmp_eq_u32 s36, s25
	s_cselect_b32 s34, -1, 0
	s_cmp_lg_u32 s36, s25
	s_cbranch_scc1 .LBB15_18
; %bb.16:                               ;   in Loop: Header=BB15_15 Depth=2
	s_and_not1_b32 vcc_lo, exec_lo, s35
	s_cbranch_vccz .LBB15_19
.LBB15_17:                              ;   in Loop: Header=BB15_15 Depth=2
	s_and_not1_b32 vcc_lo, exec_lo, s34
	s_cbranch_vccz .LBB15_14
	s_branch .LBB15_40
.LBB15_18:                              ;   in Loop: Header=BB15_15 Depth=2
	s_min_i32 s15, s36, s23
	s_cbranch_execnz .LBB15_17
.LBB15_19:                              ;   in Loop: Header=BB15_15 Depth=2
	v_mad_u64_u32 v[28:29], null, s14, s13, v[0:1]
	ds_store_b32 v6, v22 offset:8192
	v_mul_lo_u32 v28, v28, s13
	s_and_saveexec_b32 s15, s28
	s_cbranch_execnz .LBB15_23
; %bb.20:                               ;   in Loop: Header=BB15_15 Depth=2
	s_or_b32 exec_lo, exec_lo, s15
	s_and_saveexec_b32 s15, s29
	s_cbranch_execnz .LBB15_27
.LBB15_21:                              ;   in Loop: Header=BB15_15 Depth=2
	s_or_b32 exec_lo, exec_lo, s15
	s_and_saveexec_b32 s15, s30
	s_cbranch_execnz .LBB15_31
.LBB15_22:                              ;   in Loop: Header=BB15_15 Depth=2
	s_or_b32 exec_lo, exec_lo, s15
	s_and_saveexec_b32 s15, s31
	s_cbranch_execnz .LBB15_35
	s_branch .LBB15_39
.LBB15_23:                              ;   in Loop: Header=BB15_15 Depth=2
	s_and_b32 vcc_lo, exec_lo, s27
	s_cbranch_vccz .LBB15_41
; %bb.24:                               ;   in Loop: Header=BB15_15 Depth=2
	v_add_nc_u32_e32 v5, v23, v27
	v_mov_b32_e32 v29, v11
	s_cbranch_execnz .LBB15_26
.LBB15_25:                              ;   in Loop: Header=BB15_15 Depth=2
	s_delay_alu instid0(VALU_DEP_2)
	v_add_nc_u32_e32 v5, v28, v9
	v_mov_b32_e32 v29, v13
.LBB15_26:                              ;   in Loop: Header=BB15_15 Depth=2
	s_delay_alu instid0(VALU_DEP_2) | instskip(NEXT) | instid1(VALU_DEP_2)
	v_lshlrev_b64 v[30:31], 3, v[5:6]
	v_lshlrev_b32_e32 v5, 3, v29
	s_delay_alu instid0(VALU_DEP_2) | instskip(NEXT) | instid1(VALU_DEP_3)
	v_add_co_u32 v30, vcc_lo, s18, v30
	v_add_co_ci_u32_e32 v31, vcc_lo, s19, v31, vcc_lo
	global_load_b64 v[30:31], v[30:31], off
	s_waitcnt vmcnt(0)
	v_mul_f64 v[30:31], v[1:2], v[30:31]
	ds_store_b64 v5, v[30:31]
	s_or_b32 exec_lo, exec_lo, s15
	s_and_saveexec_b32 s15, s29
	s_cbranch_execz .LBB15_21
.LBB15_27:                              ;   in Loop: Header=BB15_15 Depth=2
	s_and_not1_b32 vcc_lo, exec_lo, s27
	s_cbranch_vccnz .LBB15_42
; %bb.28:                               ;   in Loop: Header=BB15_15 Depth=2
	v_add_nc_u32_e32 v5, v24, v27
	v_mov_b32_e32 v29, v15
	s_cbranch_execnz .LBB15_30
.LBB15_29:                              ;   in Loop: Header=BB15_15 Depth=2
	v_add_nc_u32_e32 v5, v28, v10
	v_mov_b32_e32 v29, v17
.LBB15_30:                              ;   in Loop: Header=BB15_15 Depth=2
	s_delay_alu instid0(VALU_DEP_2) | instskip(NEXT) | instid1(VALU_DEP_2)
	v_lshlrev_b64 v[30:31], 3, v[5:6]
	v_lshlrev_b32_e32 v5, 3, v29
	s_delay_alu instid0(VALU_DEP_2) | instskip(NEXT) | instid1(VALU_DEP_3)
	v_add_co_u32 v30, vcc_lo, s18, v30
	v_add_co_ci_u32_e32 v31, vcc_lo, s19, v31, vcc_lo
	global_load_b64 v[30:31], v[30:31], off
	s_waitcnt vmcnt(0)
	v_mul_f64 v[30:31], v[1:2], v[30:31]
	ds_store_b64 v5, v[30:31]
	s_or_b32 exec_lo, exec_lo, s15
	s_and_saveexec_b32 s15, s30
	s_cbranch_execz .LBB15_22
.LBB15_31:                              ;   in Loop: Header=BB15_15 Depth=2
	s_and_not1_b32 vcc_lo, exec_lo, s27
	s_cbranch_vccnz .LBB15_43
; %bb.32:                               ;   in Loop: Header=BB15_15 Depth=2
	v_add_nc_u32_e32 v5, v25, v27
	v_mov_b32_e32 v29, v18
	s_cbranch_execnz .LBB15_34
.LBB15_33:                              ;   in Loop: Header=BB15_15 Depth=2
	v_add_nc_u32_e32 v5, v28, v12
	v_mov_b32_e32 v29, v19
.LBB15_34:                              ;   in Loop: Header=BB15_15 Depth=2
	s_delay_alu instid0(VALU_DEP_2) | instskip(NEXT) | instid1(VALU_DEP_2)
	v_lshlrev_b64 v[30:31], 3, v[5:6]
	v_lshlrev_b32_e32 v5, 3, v29
	s_delay_alu instid0(VALU_DEP_2) | instskip(NEXT) | instid1(VALU_DEP_3)
	v_add_co_u32 v30, vcc_lo, s18, v30
	v_add_co_ci_u32_e32 v31, vcc_lo, s19, v31, vcc_lo
	global_load_b64 v[30:31], v[30:31], off
	s_waitcnt vmcnt(0)
	v_mul_f64 v[30:31], v[1:2], v[30:31]
	ds_store_b64 v5, v[30:31]
	s_or_b32 exec_lo, exec_lo, s15
	s_and_saveexec_b32 s15, s31
	s_cbranch_execz .LBB15_39
.LBB15_35:                              ;   in Loop: Header=BB15_15 Depth=2
	s_and_not1_b32 vcc_lo, exec_lo, s27
	s_cbranch_vccnz .LBB15_44
; %bb.36:                               ;   in Loop: Header=BB15_15 Depth=2
	v_add_nc_u32_e32 v5, v26, v27
	v_mov_b32_e32 v29, v20
	s_cbranch_execnz .LBB15_38
.LBB15_37:                              ;   in Loop: Header=BB15_15 Depth=2
	v_add_nc_u32_e32 v5, v28, v14
	v_mov_b32_e32 v29, v21
.LBB15_38:                              ;   in Loop: Header=BB15_15 Depth=2
	s_delay_alu instid0(VALU_DEP_2) | instskip(NEXT) | instid1(VALU_DEP_2)
	v_lshlrev_b64 v[30:31], 3, v[5:6]
	v_lshlrev_b32_e32 v5, 3, v29
	s_delay_alu instid0(VALU_DEP_2) | instskip(NEXT) | instid1(VALU_DEP_3)
	v_add_co_u32 v30, vcc_lo, s18, v30
	v_add_co_ci_u32_e32 v31, vcc_lo, s19, v31, vcc_lo
	global_load_b64 v[30:31], v[30:31], off
	s_waitcnt vmcnt(0)
	v_mul_f64 v[30:31], v[1:2], v[30:31]
	ds_store_b64 v5, v[30:31]
.LBB15_39:                              ;   in Loop: Header=BB15_15 Depth=2
	s_or_b32 exec_lo, exec_lo, s15
	s_mov_b32 s15, s23
	s_and_not1_b32 vcc_lo, exec_lo, s34
	s_cbranch_vccz .LBB15_14
.LBB15_40:                              ;   in Loop: Header=BB15_12 Depth=1
                                        ; implicit-def: $vgpr27
                                        ; implicit-def: $sgpr0_sgpr1
	s_mov_b32 s23, s15
	s_branch .LBB15_46
.LBB15_41:                              ;   in Loop: Header=BB15_15 Depth=2
	v_mov_b32_e32 v29, v11
	s_branch .LBB15_25
.LBB15_42:                              ;   in Loop: Header=BB15_15 Depth=2
	v_mov_b32_e32 v29, v15
	s_branch .LBB15_29
.LBB15_43:                              ;   in Loop: Header=BB15_15 Depth=2
	v_mov_b32_e32 v29, v18
	s_branch .LBB15_33
.LBB15_44:                              ;   in Loop: Header=BB15_15 Depth=2
	v_mov_b32_e32 v29, v20
	s_branch .LBB15_37
.LBB15_45:                              ;   in Loop: Header=BB15_12 Depth=1
	s_mov_b32 s15, s12
.LBB15_46:                              ;   in Loop: Header=BB15_12 Depth=1
	s_cmp_ge_i32 s22, s26
	s_waitcnt lgkmcnt(0)
	s_barrier
	buffer_gl0_inv
	s_cbranch_scc1 .LBB15_79
; %bb.47:                               ;   in Loop: Header=BB15_12 Depth=1
	s_mul_i32 s0, s13, s22
	s_ashr_i32 s23, s22, 31
	v_add_nc_u32_e32 v5, s0, v9
	v_dual_mov_b32 v27, v0 :: v_dual_add_nc_u32 v24, s0, v10
	v_add_nc_u32_e32 v25, s0, v12
	v_add_nc_u32_e32 v26, s0, v14
	s_delay_alu instid0(VALU_DEP_4) | instskip(NEXT) | instid1(VALU_DEP_4)
	v_mul_lo_u32 v23, s13, v5
	v_mul_lo_u32 v24, s13, v24
	s_lshl_b64 s[0:1], s[22:23], 2
	v_mul_lo_u32 v25, s13, v25
	v_mul_lo_u32 v26, s13, v26
	s_add_u32 s0, s16, s0
	s_addc_u32 s1, s17, s1
	s_branch .LBB15_49
.LBB15_48:                              ;   in Loop: Header=BB15_49 Depth=2
	s_add_i32 s22, s22, 1
	s_add_u32 s0, s0, 4
	v_add_nc_u32_e32 v27, s33, v27
	s_addc_u32 s1, s1, 0
	s_cmp_ge_i32 s22, s26
	s_cselect_b32 s15, -1, 0
	s_delay_alu instid0(SALU_CYCLE_1)
	s_and_not1_b32 vcc_lo, exec_lo, s15
	s_mov_b32 s15, s23
	s_cbranch_vccz .LBB15_80
.LBB15_49:                              ;   Parent Loop BB15_12 Depth=1
                                        ; =>  This Inner Loop Header: Depth=2
	s_load_b32 s23, s[0:1], 0x0
	s_mov_b32 s35, -1
	s_waitcnt lgkmcnt(0)
	s_sub_i32 s36, s23, s5
                                        ; implicit-def: $sgpr23
	s_delay_alu instid0(SALU_CYCLE_1)
	s_cmp_eq_u32 s36, s25
	s_cselect_b32 s34, -1, 0
	s_cmp_lg_u32 s36, s25
	s_cbranch_scc1 .LBB15_52
; %bb.50:                               ;   in Loop: Header=BB15_49 Depth=2
	s_and_not1_b32 vcc_lo, exec_lo, s35
	s_cbranch_vccz .LBB15_53
.LBB15_51:                              ;   in Loop: Header=BB15_49 Depth=2
	s_and_not1_b32 vcc_lo, exec_lo, s34
	s_cbranch_vccz .LBB15_48
	s_branch .LBB15_74
.LBB15_52:                              ;   in Loop: Header=BB15_49 Depth=2
	s_min_i32 s23, s36, s15
	s_cbranch_execnz .LBB15_51
.LBB15_53:                              ;   in Loop: Header=BB15_49 Depth=2
	v_mad_u64_u32 v[28:29], null, s22, s13, v[0:1]
	ds_store_b32 v6, v22 offset:8192
	v_mul_lo_u32 v28, v28, s13
	s_and_saveexec_b32 s23, s28
	s_cbranch_execnz .LBB15_57
; %bb.54:                               ;   in Loop: Header=BB15_49 Depth=2
	s_or_b32 exec_lo, exec_lo, s23
	s_and_saveexec_b32 s23, s29
	s_cbranch_execnz .LBB15_61
.LBB15_55:                              ;   in Loop: Header=BB15_49 Depth=2
	s_or_b32 exec_lo, exec_lo, s23
	s_and_saveexec_b32 s23, s30
	s_cbranch_execnz .LBB15_65
.LBB15_56:                              ;   in Loop: Header=BB15_49 Depth=2
	s_or_b32 exec_lo, exec_lo, s23
	s_and_saveexec_b32 s23, s31
	s_cbranch_execnz .LBB15_69
	s_branch .LBB15_73
.LBB15_57:                              ;   in Loop: Header=BB15_49 Depth=2
	s_and_b32 vcc_lo, exec_lo, s27
	s_cbranch_vccz .LBB15_75
; %bb.58:                               ;   in Loop: Header=BB15_49 Depth=2
	v_add_nc_u32_e32 v5, v23, v27
	v_mov_b32_e32 v29, v11
	s_cbranch_execnz .LBB15_60
.LBB15_59:                              ;   in Loop: Header=BB15_49 Depth=2
	s_delay_alu instid0(VALU_DEP_2)
	v_add_nc_u32_e32 v5, v28, v9
	v_mov_b32_e32 v29, v13
.LBB15_60:                              ;   in Loop: Header=BB15_49 Depth=2
	s_delay_alu instid0(VALU_DEP_2) | instskip(NEXT) | instid1(VALU_DEP_2)
	v_lshlrev_b64 v[30:31], 3, v[5:6]
	v_lshlrev_b32_e32 v5, 3, v29
	ds_load_b64 v[32:33], v5
	v_add_co_u32 v30, vcc_lo, s20, v30
	v_add_co_ci_u32_e32 v31, vcc_lo, s21, v31, vcc_lo
	global_load_b64 v[30:31], v[30:31], off
	s_waitcnt vmcnt(0) lgkmcnt(0)
	v_fma_f64 v[29:30], v[3:4], v[30:31], v[32:33]
	ds_store_b64 v5, v[29:30]
	s_or_b32 exec_lo, exec_lo, s23
	s_and_saveexec_b32 s23, s29
	s_cbranch_execz .LBB15_55
.LBB15_61:                              ;   in Loop: Header=BB15_49 Depth=2
	s_and_not1_b32 vcc_lo, exec_lo, s27
	s_cbranch_vccnz .LBB15_76
; %bb.62:                               ;   in Loop: Header=BB15_49 Depth=2
	v_add_nc_u32_e32 v5, v24, v27
	v_mov_b32_e32 v29, v15
	s_cbranch_execnz .LBB15_64
.LBB15_63:                              ;   in Loop: Header=BB15_49 Depth=2
	v_add_nc_u32_e32 v5, v28, v10
	v_mov_b32_e32 v29, v17
.LBB15_64:                              ;   in Loop: Header=BB15_49 Depth=2
	s_delay_alu instid0(VALU_DEP_2) | instskip(NEXT) | instid1(VALU_DEP_2)
	v_lshlrev_b64 v[30:31], 3, v[5:6]
	v_lshlrev_b32_e32 v5, 3, v29
	ds_load_b64 v[32:33], v5
	v_add_co_u32 v30, vcc_lo, s20, v30
	v_add_co_ci_u32_e32 v31, vcc_lo, s21, v31, vcc_lo
	global_load_b64 v[30:31], v[30:31], off
	s_waitcnt vmcnt(0) lgkmcnt(0)
	v_fma_f64 v[29:30], v[3:4], v[30:31], v[32:33]
	ds_store_b64 v5, v[29:30]
	s_or_b32 exec_lo, exec_lo, s23
	s_and_saveexec_b32 s23, s30
	s_cbranch_execz .LBB15_56
.LBB15_65:                              ;   in Loop: Header=BB15_49 Depth=2
	s_and_not1_b32 vcc_lo, exec_lo, s27
	s_cbranch_vccnz .LBB15_77
; %bb.66:                               ;   in Loop: Header=BB15_49 Depth=2
	v_add_nc_u32_e32 v5, v25, v27
	v_mov_b32_e32 v29, v18
	s_cbranch_execnz .LBB15_68
.LBB15_67:                              ;   in Loop: Header=BB15_49 Depth=2
	v_add_nc_u32_e32 v5, v28, v12
	v_mov_b32_e32 v29, v19
.LBB15_68:                              ;   in Loop: Header=BB15_49 Depth=2
	s_delay_alu instid0(VALU_DEP_2) | instskip(NEXT) | instid1(VALU_DEP_2)
	v_lshlrev_b64 v[30:31], 3, v[5:6]
	v_lshlrev_b32_e32 v5, 3, v29
	ds_load_b64 v[32:33], v5
	v_add_co_u32 v30, vcc_lo, s20, v30
	v_add_co_ci_u32_e32 v31, vcc_lo, s21, v31, vcc_lo
	global_load_b64 v[30:31], v[30:31], off
	s_waitcnt vmcnt(0) lgkmcnt(0)
	v_fma_f64 v[29:30], v[3:4], v[30:31], v[32:33]
	ds_store_b64 v5, v[29:30]
	s_or_b32 exec_lo, exec_lo, s23
	s_and_saveexec_b32 s23, s31
	s_cbranch_execz .LBB15_73
.LBB15_69:                              ;   in Loop: Header=BB15_49 Depth=2
	s_and_not1_b32 vcc_lo, exec_lo, s27
	s_cbranch_vccnz .LBB15_78
; %bb.70:                               ;   in Loop: Header=BB15_49 Depth=2
	v_add_nc_u32_e32 v5, v26, v27
	v_mov_b32_e32 v29, v20
	s_cbranch_execnz .LBB15_72
.LBB15_71:                              ;   in Loop: Header=BB15_49 Depth=2
	v_add_nc_u32_e32 v5, v28, v14
	v_mov_b32_e32 v29, v21
.LBB15_72:                              ;   in Loop: Header=BB15_49 Depth=2
	s_delay_alu instid0(VALU_DEP_2) | instskip(NEXT) | instid1(VALU_DEP_2)
	v_lshlrev_b64 v[30:31], 3, v[5:6]
	v_lshlrev_b32_e32 v5, 3, v29
	ds_load_b64 v[28:29], v5
	v_add_co_u32 v30, vcc_lo, s20, v30
	v_add_co_ci_u32_e32 v31, vcc_lo, s21, v31, vcc_lo
	global_load_b64 v[30:31], v[30:31], off
	s_waitcnt vmcnt(0) lgkmcnt(0)
	v_fma_f64 v[28:29], v[3:4], v[30:31], v[28:29]
	ds_store_b64 v5, v[28:29]
.LBB15_73:                              ;   in Loop: Header=BB15_49 Depth=2
	s_or_b32 exec_lo, exec_lo, s23
	s_mov_b32 s23, s15
	s_and_not1_b32 vcc_lo, exec_lo, s34
	s_cbranch_vccz .LBB15_48
.LBB15_74:                              ;   in Loop: Header=BB15_12 Depth=1
                                        ; implicit-def: $vgpr27
                                        ; implicit-def: $sgpr0_sgpr1
	s_mov_b32 s15, s23
	s_branch .LBB15_80
.LBB15_75:                              ;   in Loop: Header=BB15_49 Depth=2
	v_mov_b32_e32 v29, v11
	s_branch .LBB15_59
.LBB15_76:                              ;   in Loop: Header=BB15_49 Depth=2
	v_mov_b32_e32 v29, v15
	s_branch .LBB15_63
.LBB15_77:                              ;   in Loop: Header=BB15_49 Depth=2
	v_mov_b32_e32 v29, v18
	s_branch .LBB15_67
.LBB15_78:                              ;   in Loop: Header=BB15_49 Depth=2
	v_mov_b32_e32 v29, v20
	s_branch .LBB15_71
.LBB15_79:                              ;   in Loop: Header=BB15_12 Depth=1
	s_mov_b32 s23, s15
.LBB15_80:                              ;   in Loop: Header=BB15_12 Depth=1
	s_waitcnt lgkmcnt(0)
	s_barrier
	buffer_gl0_inv
	ds_load_b32 v5, v6 offset:8192
	s_waitcnt lgkmcnt(0)
	v_cmp_eq_u32_e32 vcc_lo, 0, v5
	s_cbranch_vccnz .LBB15_11
; %bb.81:                               ;   in Loop: Header=BB15_12 Depth=1
	s_mul_i32 s0, s24, s13
	s_add_i32 s1, s25, s6
	v_add_nc_u32_e32 v5, s0, v0
	s_ashr_i32 s25, s24, 31
	s_delay_alu instid0(SALU_CYCLE_1) | instskip(NEXT) | instid1(SALU_CYCLE_1)
	s_lshl_b64 s[34:35], s[24:25], 2
	s_add_u32 s34, s8, s34
	s_delay_alu instid0(VALU_DEP_1)
	v_mul_lo_u32 v23, v5, s13
	v_mov_b32_e32 v5, s1
	s_addc_u32 s35, s9, s35
	global_store_b32 v6, v5, s[34:35]
	s_and_saveexec_b32 s1, s28
	s_cbranch_execnz .LBB15_85
; %bb.82:                               ;   in Loop: Header=BB15_12 Depth=1
	s_or_b32 exec_lo, exec_lo, s1
	s_and_saveexec_b32 s1, s29
	s_cbranch_execnz .LBB15_89
.LBB15_83:                              ;   in Loop: Header=BB15_12 Depth=1
	s_or_b32 exec_lo, exec_lo, s1
	s_and_saveexec_b32 s1, s30
	s_cbranch_execnz .LBB15_93
.LBB15_84:                              ;   in Loop: Header=BB15_12 Depth=1
	s_or_b32 exec_lo, exec_lo, s1
	s_and_saveexec_b32 s1, s31
	s_cbranch_execz .LBB15_10
	s_branch .LBB15_97
.LBB15_85:                              ;   in Loop: Header=BB15_12 Depth=1
	s_and_b32 vcc_lo, exec_lo, s27
	s_cbranch_vccz .LBB15_99
; %bb.86:                               ;   in Loop: Header=BB15_12 Depth=1
	v_add_nc_u32_e32 v5, s0, v9
	s_delay_alu instid0(VALU_DEP_1) | instskip(NEXT) | instid1(VALU_DEP_1)
	v_mad_u64_u32 v[24:25], null, v5, s13, v[0:1]
	v_dual_mov_b32 v5, v24 :: v_dual_mov_b32 v24, v11
	s_cbranch_execnz .LBB15_88
.LBB15_87:                              ;   in Loop: Header=BB15_12 Depth=1
	v_dual_mov_b32 v24, v13 :: v_dual_add_nc_u32 v5, v23, v9
.LBB15_88:                              ;   in Loop: Header=BB15_12 Depth=1
	s_delay_alu instid0(VALU_DEP_1) | instskip(NEXT) | instid1(VALU_DEP_2)
	v_lshlrev_b32_e32 v24, 3, v24
	v_lshlrev_b64 v[26:27], 3, v[5:6]
	ds_load_b64 v[24:25], v24
	v_add_co_u32 v26, vcc_lo, s10, v26
	v_add_co_ci_u32_e32 v27, vcc_lo, s11, v27, vcc_lo
	s_waitcnt lgkmcnt(0)
	global_store_b64 v[26:27], v[24:25], off
	s_or_b32 exec_lo, exec_lo, s1
	s_and_saveexec_b32 s1, s29
	s_cbranch_execz .LBB15_83
.LBB15_89:                              ;   in Loop: Header=BB15_12 Depth=1
	s_and_not1_b32 vcc_lo, exec_lo, s27
	s_cbranch_vccnz .LBB15_100
; %bb.90:                               ;   in Loop: Header=BB15_12 Depth=1
	v_add_nc_u32_e32 v5, s0, v10
	s_delay_alu instid0(VALU_DEP_1) | instskip(NEXT) | instid1(VALU_DEP_1)
	v_mad_u64_u32 v[24:25], null, v5, s13, v[0:1]
	v_dual_mov_b32 v5, v24 :: v_dual_mov_b32 v24, v15
	s_cbranch_execnz .LBB15_92
.LBB15_91:                              ;   in Loop: Header=BB15_12 Depth=1
	v_dual_mov_b32 v24, v17 :: v_dual_add_nc_u32 v5, v23, v10
.LBB15_92:                              ;   in Loop: Header=BB15_12 Depth=1
	s_delay_alu instid0(VALU_DEP_1) | instskip(NEXT) | instid1(VALU_DEP_2)
	v_lshlrev_b32_e32 v24, 3, v24
	v_lshlrev_b64 v[26:27], 3, v[5:6]
	ds_load_b64 v[24:25], v24
	v_add_co_u32 v26, vcc_lo, s10, v26
	v_add_co_ci_u32_e32 v27, vcc_lo, s11, v27, vcc_lo
	s_waitcnt lgkmcnt(0)
	global_store_b64 v[26:27], v[24:25], off
	s_or_b32 exec_lo, exec_lo, s1
	s_and_saveexec_b32 s1, s30
	s_cbranch_execz .LBB15_84
.LBB15_93:                              ;   in Loop: Header=BB15_12 Depth=1
	s_and_not1_b32 vcc_lo, exec_lo, s27
	s_cbranch_vccnz .LBB15_101
; %bb.94:                               ;   in Loop: Header=BB15_12 Depth=1
	v_add_nc_u32_e32 v5, s0, v12
	s_delay_alu instid0(VALU_DEP_1) | instskip(NEXT) | instid1(VALU_DEP_1)
	v_mad_u64_u32 v[24:25], null, v5, s13, v[0:1]
	v_dual_mov_b32 v5, v24 :: v_dual_mov_b32 v24, v18
	s_cbranch_execnz .LBB15_96
.LBB15_95:                              ;   in Loop: Header=BB15_12 Depth=1
	v_add_nc_u32_e32 v5, v23, v12
	v_mov_b32_e32 v24, v19
.LBB15_96:                              ;   in Loop: Header=BB15_12 Depth=1
	s_delay_alu instid0(VALU_DEP_1) | instskip(NEXT) | instid1(VALU_DEP_2)
	v_lshlrev_b32_e32 v24, 3, v24
	v_lshlrev_b64 v[26:27], 3, v[5:6]
	ds_load_b64 v[24:25], v24
	v_add_co_u32 v26, vcc_lo, s10, v26
	v_add_co_ci_u32_e32 v27, vcc_lo, s11, v27, vcc_lo
	s_waitcnt lgkmcnt(0)
	global_store_b64 v[26:27], v[24:25], off
	s_or_b32 exec_lo, exec_lo, s1
	s_and_saveexec_b32 s1, s31
	s_cbranch_execz .LBB15_10
.LBB15_97:                              ;   in Loop: Header=BB15_12 Depth=1
	s_and_not1_b32 vcc_lo, exec_lo, s27
	s_cbranch_vccnz .LBB15_102
; %bb.98:                               ;   in Loop: Header=BB15_12 Depth=1
	v_add_nc_u32_e32 v5, s0, v14
	s_delay_alu instid0(VALU_DEP_1) | instskip(NEXT) | instid1(VALU_DEP_1)
	v_mad_u64_u32 v[24:25], null, v5, s13, v[0:1]
	v_mov_b32_e32 v5, v24
	v_mov_b32_e32 v24, v20
	s_cbranch_execnz .LBB15_9
	s_branch .LBB15_103
.LBB15_99:                              ;   in Loop: Header=BB15_12 Depth=1
	v_mov_b32_e32 v24, v11
	s_branch .LBB15_87
.LBB15_100:                             ;   in Loop: Header=BB15_12 Depth=1
	v_mov_b32_e32 v24, v15
	s_branch .LBB15_91
.LBB15_101:                             ;   in Loop: Header=BB15_12 Depth=1
	v_mov_b32_e32 v24, v18
	s_branch .LBB15_95
.LBB15_102:                             ;   in Loop: Header=BB15_12 Depth=1
	v_mov_b32_e32 v24, v20
.LBB15_103:                             ;   in Loop: Header=BB15_12 Depth=1
	v_dual_mov_b32 v24, v21 :: v_dual_add_nc_u32 v5, v23, v14
	s_branch .LBB15_9
.LBB15_104:
	s_endpgm
	.section	.rodata,"a",@progbits
	.p2align	6, 0x0
	.amdhsa_kernel _ZN9rocsparseL39bsrgeam_block_per_row_multipass_kernel2ILj256ELj32EdEEv20rocsparse_direction_iiiNS_24const_host_device_scalarIT1_EEPKiS6_PKS3_S4_S6_S6_S8_S6_PiPS3_21rocsparse_index_base_SB_SB_b
		.amdhsa_group_segment_fixed_size 8200
		.amdhsa_private_segment_fixed_size 0
		.amdhsa_kernarg_size 120
		.amdhsa_user_sgpr_count 15
		.amdhsa_user_sgpr_dispatch_ptr 0
		.amdhsa_user_sgpr_queue_ptr 0
		.amdhsa_user_sgpr_kernarg_segment_ptr 1
		.amdhsa_user_sgpr_dispatch_id 0
		.amdhsa_user_sgpr_private_segment_size 0
		.amdhsa_wavefront_size32 1
		.amdhsa_uses_dynamic_stack 0
		.amdhsa_enable_private_segment 0
		.amdhsa_system_sgpr_workgroup_id_x 1
		.amdhsa_system_sgpr_workgroup_id_y 0
		.amdhsa_system_sgpr_workgroup_id_z 0
		.amdhsa_system_sgpr_workgroup_info 0
		.amdhsa_system_vgpr_workitem_id 0
		.amdhsa_next_free_vgpr 34
		.amdhsa_next_free_sgpr 37
		.amdhsa_reserve_vcc 1
		.amdhsa_float_round_mode_32 0
		.amdhsa_float_round_mode_16_64 0
		.amdhsa_float_denorm_mode_32 3
		.amdhsa_float_denorm_mode_16_64 3
		.amdhsa_dx10_clamp 1
		.amdhsa_ieee_mode 1
		.amdhsa_fp16_overflow 0
		.amdhsa_workgroup_processor_mode 1
		.amdhsa_memory_ordered 1
		.amdhsa_forward_progress 0
		.amdhsa_shared_vgpr_count 0
		.amdhsa_exception_fp_ieee_invalid_op 0
		.amdhsa_exception_fp_denorm_src 0
		.amdhsa_exception_fp_ieee_div_zero 0
		.amdhsa_exception_fp_ieee_overflow 0
		.amdhsa_exception_fp_ieee_underflow 0
		.amdhsa_exception_fp_ieee_inexact 0
		.amdhsa_exception_int_div_zero 0
	.end_amdhsa_kernel
	.section	.text._ZN9rocsparseL39bsrgeam_block_per_row_multipass_kernel2ILj256ELj32EdEEv20rocsparse_direction_iiiNS_24const_host_device_scalarIT1_EEPKiS6_PKS3_S4_S6_S6_S8_S6_PiPS3_21rocsparse_index_base_SB_SB_b,"axG",@progbits,_ZN9rocsparseL39bsrgeam_block_per_row_multipass_kernel2ILj256ELj32EdEEv20rocsparse_direction_iiiNS_24const_host_device_scalarIT1_EEPKiS6_PKS3_S4_S6_S6_S8_S6_PiPS3_21rocsparse_index_base_SB_SB_b,comdat
.Lfunc_end15:
	.size	_ZN9rocsparseL39bsrgeam_block_per_row_multipass_kernel2ILj256ELj32EdEEv20rocsparse_direction_iiiNS_24const_host_device_scalarIT1_EEPKiS6_PKS3_S4_S6_S6_S8_S6_PiPS3_21rocsparse_index_base_SB_SB_b, .Lfunc_end15-_ZN9rocsparseL39bsrgeam_block_per_row_multipass_kernel2ILj256ELj32EdEEv20rocsparse_direction_iiiNS_24const_host_device_scalarIT1_EEPKiS6_PKS3_S4_S6_S6_S8_S6_PiPS3_21rocsparse_index_base_SB_SB_b
                                        ; -- End function
	.section	.AMDGPU.csdata,"",@progbits
; Kernel info:
; codeLenInByte = 2716
; NumSgprs: 39
; NumVgprs: 34
; ScratchSize: 0
; MemoryBound: 0
; FloatMode: 240
; IeeeMode: 1
; LDSByteSize: 8200 bytes/workgroup (compile time only)
; SGPRBlocks: 4
; VGPRBlocks: 4
; NumSGPRsForWavesPerEU: 39
; NumVGPRsForWavesPerEU: 34
; Occupancy: 16
; WaveLimiterHint : 1
; COMPUTE_PGM_RSRC2:SCRATCH_EN: 0
; COMPUTE_PGM_RSRC2:USER_SGPR: 15
; COMPUTE_PGM_RSRC2:TRAP_HANDLER: 0
; COMPUTE_PGM_RSRC2:TGID_X_EN: 1
; COMPUTE_PGM_RSRC2:TGID_Y_EN: 0
; COMPUTE_PGM_RSRC2:TGID_Z_EN: 0
; COMPUTE_PGM_RSRC2:TIDIG_COMP_CNT: 0
	.section	.text._ZN9rocsparseL39bsrgeam_wf_per_row_multipass_2_3_kernelILj256ELj2ELj32E21rocsparse_complex_numIfEEEv20rocsparse_direction_iiiNS_24const_host_device_scalarIT2_EEPKiS8_PKS5_S6_S8_S8_SA_S8_PiPS5_21rocsparse_index_base_SD_SD_b,"axG",@progbits,_ZN9rocsparseL39bsrgeam_wf_per_row_multipass_2_3_kernelILj256ELj2ELj32E21rocsparse_complex_numIfEEEv20rocsparse_direction_iiiNS_24const_host_device_scalarIT2_EEPKiS8_PKS5_S6_S8_S8_SA_S8_PiPS5_21rocsparse_index_base_SD_SD_b,comdat
	.globl	_ZN9rocsparseL39bsrgeam_wf_per_row_multipass_2_3_kernelILj256ELj2ELj32E21rocsparse_complex_numIfEEEv20rocsparse_direction_iiiNS_24const_host_device_scalarIT2_EEPKiS8_PKS5_S6_S8_S8_SA_S8_PiPS5_21rocsparse_index_base_SD_SD_b ; -- Begin function _ZN9rocsparseL39bsrgeam_wf_per_row_multipass_2_3_kernelILj256ELj2ELj32E21rocsparse_complex_numIfEEEv20rocsparse_direction_iiiNS_24const_host_device_scalarIT2_EEPKiS8_PKS5_S6_S8_S8_SA_S8_PiPS5_21rocsparse_index_base_SD_SD_b
	.p2align	8
	.type	_ZN9rocsparseL39bsrgeam_wf_per_row_multipass_2_3_kernelILj256ELj2ELj32E21rocsparse_complex_numIfEEEv20rocsparse_direction_iiiNS_24const_host_device_scalarIT2_EEPKiS8_PKS5_S6_S8_S8_SA_S8_PiPS5_21rocsparse_index_base_SD_SD_b,@function
_ZN9rocsparseL39bsrgeam_wf_per_row_multipass_2_3_kernelILj256ELj2ELj32E21rocsparse_complex_numIfEEEv20rocsparse_direction_iiiNS_24const_host_device_scalarIT2_EEPKiS8_PKS5_S6_S8_S8_SA_S8_PiPS5_21rocsparse_index_base_SD_SD_b: ; @_ZN9rocsparseL39bsrgeam_wf_per_row_multipass_2_3_kernelILj256ELj2ELj32E21rocsparse_complex_numIfEEEv20rocsparse_direction_iiiNS_24const_host_device_scalarIT2_EEPKiS8_PKS5_S6_S8_S8_SA_S8_PiPS5_21rocsparse_index_base_SD_SD_b
; %bb.0:
	s_clause 0x2
	s_load_b128 s[4:7], s[0:1], 0x68
	s_load_b64 s[2:3], s[0:1], 0x10
	s_load_b64 s[28:29], s[0:1], 0x30
	s_waitcnt lgkmcnt(0)
	s_bitcmp1_b32 s7, 0
	s_cselect_b32 s7, -1, 0
	s_delay_alu instid0(SALU_CYCLE_1)
	s_xor_b32 s8, s7, -1
	s_and_b32 vcc_lo, exec_lo, s7
	s_mov_b32 s7, s2
	s_cbranch_vccz .LBB16_41
; %bb.1:
	v_cndmask_b32_e64 v1, 0, 1, s8
	s_and_not1_b32 vcc_lo, exec_lo, s8
	s_cbranch_vccz .LBB16_42
.LBB16_2:
	s_delay_alu instid0(VALU_DEP_1)
	v_cmp_ne_u32_e32 vcc_lo, 1, v1
	s_mov_b32 s2, s28
	s_cbranch_vccz .LBB16_43
.LBB16_3:
	v_cmp_ne_u32_e32 vcc_lo, 1, v1
	s_cbranch_vccnz .LBB16_5
.LBB16_4:
	s_load_b32 s29, s[28:29], 0x4
.LBB16_5:
	s_load_b128 s[8:11], s[0:1], 0x0
	v_lshrrev_b32_e32 v7, 5, v0
	s_waitcnt lgkmcnt(0)
	s_lshl_b32 s11, s15, 3
	s_delay_alu instid0(VALU_DEP_1) | instid1(SALU_CYCLE_1)
	v_and_or_b32 v1, 0x7fffff8, s11, v7
	s_delay_alu instid0(VALU_DEP_1)
	v_cmp_gt_i32_e32 vcc_lo, s9, v1
	s_and_saveexec_b32 s9, vcc_lo
	s_cbranch_execz .LBB16_40
; %bb.6:
	s_clause 0x2
	s_load_b128 s[12:15], s[0:1], 0x18
	s_load_b128 s[16:19], s[0:1], 0x38
	s_load_b64 s[20:21], s[0:1], 0x50
	v_lshlrev_b32_e32 v1, 2, v1
	s_waitcnt lgkmcnt(0)
	s_clause 0x2
	global_load_b64 v[5:6], v1, s[12:13]
	global_load_b64 v[3:4], v1, s[16:17]
	global_load_b32 v8, v1, s[20:21]
	s_waitcnt vmcnt(2)
	v_subrev_nc_u32_e32 v1, s4, v5
	v_cmp_lt_i32_e32 vcc_lo, v5, v6
	v_mov_b32_e32 v5, s10
	s_and_saveexec_b32 s9, vcc_lo
	s_cbranch_execz .LBB16_8
; %bb.7:
	v_ashrrev_i32_e32 v2, 31, v1
	s_delay_alu instid0(VALU_DEP_1) | instskip(NEXT) | instid1(VALU_DEP_1)
	v_lshlrev_b64 v[9:10], 2, v[1:2]
	v_add_co_u32 v9, vcc_lo, s14, v9
	s_delay_alu instid0(VALU_DEP_2)
	v_add_co_ci_u32_e32 v10, vcc_lo, s15, v10, vcc_lo
	global_load_b32 v2, v[9:10], off
	s_waitcnt vmcnt(0)
	v_subrev_nc_u32_e32 v5, s4, v2
.LBB16_8:
	s_or_b32 exec_lo, exec_lo, s9
	s_clause 0x2
	s_load_b128 s[20:23], s[0:1], 0x58
	s_load_b64 s[12:13], s[0:1], 0x28
	s_load_b64 s[16:17], s[0:1], 0x48
	s_waitcnt vmcnt(1)
	v_subrev_nc_u32_e32 v2, s5, v3
	v_cmp_lt_i32_e32 vcc_lo, v3, v4
	v_mov_b32_e32 v3, s10
	s_and_saveexec_b32 s0, vcc_lo
	s_cbranch_execz .LBB16_10
; %bb.9:
	v_ashrrev_i32_e32 v3, 31, v2
	s_delay_alu instid0(VALU_DEP_1) | instskip(NEXT) | instid1(VALU_DEP_1)
	v_lshlrev_b64 v[9:10], 2, v[2:3]
	v_add_co_u32 v9, vcc_lo, s18, v9
	s_delay_alu instid0(VALU_DEP_2)
	v_add_co_ci_u32_e32 v10, vcc_lo, s19, v10, vcc_lo
	global_load_b32 v3, v[9:10], off
	s_waitcnt vmcnt(0)
	v_subrev_nc_u32_e32 v3, s5, v3
.LBB16_10:
	s_or_b32 exec_lo, exec_lo, s0
	s_movk_i32 s0, 0xe0
	v_subrev_nc_u32_e32 v19, s5, v4
	v_and_or_b32 v17, v0, s0, 0x2000
	v_mbcnt_lo_u32_b32 v4, -1, 0
	v_and_b32_e32 v0, 31, v0
	s_waitcnt vmcnt(0)
	v_subrev_nc_u32_e32 v20, s6, v8
	v_min_i32_e32 v24, v3, v5
	s_mov_b32 s24, 0
	v_xor_b32_e32 v3, 2, v4
	v_add_nc_u32_e32 v8, v1, v0
	v_xor_b32_e32 v1, 16, v4
	v_dual_mov_b32 v13, 0 :: v_dual_add_nc_u32 v10, v2, v0
	v_xor_b32_e32 v2, 31, v0
	v_xor_b32_e32 v5, 1, v4
	s_delay_alu instid0(VALU_DEP_4)
	v_cmp_gt_i32_e32 vcc_lo, 32, v1
	v_lshlrev_b32_e32 v16, 10, v7
	s_mov_b32 s25, s24
	v_lshrrev_b32_e64 v21, v2, -1
	v_xor_b32_e32 v2, 8, v4
	v_cndmask_b32_e32 v1, v4, v1, vcc_lo
	s_mov_b32 s26, s24
	s_mov_b32 s27, s24
	s_cmp_lg_u32 s8, 0
	v_cmp_gt_i32_e32 vcc_lo, 32, v2
	v_lshlrev_b32_e32 v23, 2, v1
	v_xor_b32_e32 v1, 4, v4
	v_subrev_nc_u32_e32 v18, s4, v6
	v_dual_mov_b32 v31, 1 :: v_dual_cndmask_b32 v2, v4, v2
	s_cselect_b32 s1, -1, 0
	s_delay_alu instid0(VALU_DEP_3) | instskip(SKIP_1) | instid1(VALU_DEP_2)
	v_cmp_gt_i32_e32 vcc_lo, 32, v1
	s_cmp_eq_u32 s8, 0
	v_lshlrev_b32_e32 v26, 2, v2
	s_cselect_b32 s8, 16, 8
	v_cndmask_b32_e32 v1, v4, v1, vcc_lo
	v_cmp_gt_i32_e32 vcc_lo, 32, v3
	v_add_nc_u32_e32 v22, s6, v0
	v_lshl_or_b32 v25, v0, 5, v16
	v_add_nc_u32_e32 v30, v17, v0
	v_lshlrev_b32_e32 v27, 2, v1
	v_cndmask_b32_e32 v3, v4, v3, vcc_lo
	v_cmp_gt_i32_e32 vcc_lo, 32, v5
	s_cselect_b32 s6, 8, 16
	s_delay_alu instid0(VALU_DEP_2) | instskip(SKIP_3) | instid1(VALU_DEP_2)
	v_lshlrev_b32_e32 v28, 2, v3
	v_mov_b32_e32 v0, s24
	v_dual_cndmask_b32 v4, v4, v5 :: v_dual_mov_b32 v3, s27
	v_dual_mov_b32 v1, s25 :: v_dual_mov_b32 v2, s26
	v_lshlrev_b32_e32 v29, 2, v4
	s_branch .LBB16_12
.LBB16_11:                              ;   in Loop: Header=BB16_12 Depth=1
	s_or_b32 exec_lo, exec_lo, s9
	ds_bpermute_b32 v4, v23, v32
	s_bcnt1_i32_b32 s9, vcc_lo
	s_delay_alu instid0(SALU_CYCLE_1)
	v_add_nc_u32_e32 v20, s9, v20
	s_waitcnt lgkmcnt(0)
	v_min_i32_e32 v4, v4, v32
	ds_bpermute_b32 v5, v26, v4
	s_waitcnt lgkmcnt(0)
	v_min_i32_e32 v4, v5, v4
	ds_bpermute_b32 v5, v27, v4
	;; [unrolled: 3-line block ×4, first 2 shown]
	s_waitcnt lgkmcnt(0)
	v_min_i32_e32 v24, v5, v4
	s_delay_alu instid0(VALU_DEP_1) | instskip(NEXT) | instid1(VALU_DEP_1)
	v_cmp_le_i32_e64 s0, s10, v24
	s_or_b32 s24, s0, s24
	s_delay_alu instid0(SALU_CYCLE_1)
	s_and_not1_b32 exec_lo, exec_lo, s24
	s_cbranch_execz .LBB16_40
.LBB16_12:                              ; =>This Loop Header: Depth=1
                                        ;     Child Loop BB16_15 Depth 2
                                        ;     Child Loop BB16_28 Depth 2
	v_mov_b32_e32 v32, s10
	s_mov_b32 s9, exec_lo
	ds_store_b8 v30, v13
	ds_store_b128 v25, v[0:3]
	ds_store_b128 v25, v[0:3] offset:16
	s_waitcnt lgkmcnt(0)
	buffer_gl0_inv
	v_cmpx_lt_i32_e64 v8, v18
	s_cbranch_execz .LBB16_25
; %bb.13:                               ;   in Loop: Header=BB16_12 Depth=1
	v_lshlrev_b32_e32 v12, 2, v8
	v_mov_b32_e32 v32, s10
	s_mov_b32 s11, 0
	s_branch .LBB16_15
.LBB16_14:                              ;   in Loop: Header=BB16_15 Depth=2
	s_or_b32 exec_lo, exec_lo, s26
	s_delay_alu instid0(SALU_CYCLE_1) | instskip(NEXT) | instid1(SALU_CYCLE_1)
	s_and_b32 s0, exec_lo, s25
	s_or_b32 s11, s0, s11
	s_delay_alu instid0(SALU_CYCLE_1)
	s_and_not1_b32 exec_lo, exec_lo, s11
	s_cbranch_execz .LBB16_24
.LBB16_15:                              ;   Parent Loop BB16_12 Depth=1
                                        ; =>  This Inner Loop Header: Depth=2
	v_ashrrev_i32_e32 v9, 31, v8
	s_mov_b32 s25, exec_lo
	s_delay_alu instid0(VALU_DEP_1) | instskip(NEXT) | instid1(VALU_DEP_1)
	v_lshlrev_b64 v[4:5], 2, v[8:9]
	v_add_co_u32 v4, vcc_lo, s14, v4
	s_delay_alu instid0(VALU_DEP_2) | instskip(SKIP_3) | instid1(VALU_DEP_1)
	v_add_co_ci_u32_e32 v5, vcc_lo, s15, v5, vcc_lo
	global_load_b32 v4, v[4:5], off
	s_waitcnt vmcnt(0)
	v_subrev_nc_u32_e32 v4, s4, v4
	v_sub_nc_u32_e32 v6, v4, v24
	s_delay_alu instid0(VALU_DEP_1)
	v_cmp_gt_u32_e64 s0, 32, v6
	v_cmpx_lt_u32_e32 31, v6
	s_xor_b32 s25, exec_lo, s25
; %bb.16:                               ;   in Loop: Header=BB16_15 Depth=2
	v_min_i32_e32 v32, v4, v32
                                        ; implicit-def: $vgpr6
; %bb.17:                               ;   in Loop: Header=BB16_15 Depth=2
	s_and_not1_saveexec_b32 s25, s25
	s_cbranch_execz .LBB16_22
; %bb.18:                               ;   in Loop: Header=BB16_15 Depth=2
	v_lshlrev_b64 v[4:5], 3, v[12:13]
	v_add_nc_u32_e32 v9, v17, v6
	v_lshlrev_b32_e32 v7, 5, v6
	s_delay_alu instid0(VALU_DEP_3) | instskip(NEXT) | instid1(VALU_DEP_4)
	v_add_co_u32 v4, vcc_lo, s12, v4
	v_add_co_ci_u32_e32 v5, vcc_lo, s13, v5, vcc_lo
	s_and_not1_b32 vcc_lo, exec_lo, s1
	s_delay_alu instid0(VALU_DEP_3) | instskip(SKIP_3) | instid1(VALU_DEP_1)
	v_add_nc_u32_e32 v6, v16, v7
	global_load_b64 v[14:15], v[4:5], off
	s_waitcnt vmcnt(0)
	v_mul_f32_e64 v33, v15, -s3
	v_dual_mul_f32 v34, s7, v15 :: v_dual_fmac_f32 v33, s7, v14
	s_delay_alu instid0(VALU_DEP_1)
	v_fmac_f32_e32 v34, s3, v14
	ds_store_b8 v9, v31
	ds_store_b64 v6, v[33:34]
	s_cbranch_vccnz .LBB16_20
; %bb.19:                               ;   in Loop: Header=BB16_15 Depth=2
	s_clause 0x1
	global_load_b128 v[33:36], v[4:5], off offset:8
	global_load_b64 v[14:15], v[4:5], off offset:24
	s_waitcnt vmcnt(1)
	v_mul_f32_e64 v37, v36, -s3
	v_mul_f32_e32 v38, s7, v36
	v_mul_f32_e64 v39, v34, -s3
	v_mul_f32_e32 v40, s7, v34
	s_waitcnt vmcnt(0)
	v_mul_f32_e64 v41, v15, -s3
	v_mul_f32_e32 v42, s7, v15
	v_fmac_f32_e32 v37, s7, v35
	v_dual_fmac_f32 v38, s3, v35 :: v_dual_fmac_f32 v39, s7, v33
	s_delay_alu instid0(VALU_DEP_4) | instskip(NEXT) | instid1(VALU_DEP_4)
	v_dual_fmac_f32 v41, s7, v14 :: v_dual_fmac_f32 v40, s3, v33
	v_fmac_f32_e32 v42, s3, v14
	ds_store_2addr_b64 v6, v[37:38], v[39:40] offset0:1 offset1:2
	ds_store_b64 v6, v[41:42] offset:24
	s_cbranch_execz .LBB16_21
	s_branch .LBB16_22
.LBB16_20:                              ;   in Loop: Header=BB16_15 Depth=2
.LBB16_21:                              ;   in Loop: Header=BB16_15 Depth=2
	s_clause 0x1
	global_load_b128 v[33:36], v[4:5], off offset:8
	global_load_b64 v[4:5], v[4:5], off offset:24
	s_waitcnt vmcnt(1)
	v_mul_f32_e64 v14, v34, -s3
	v_dual_mul_f32 v15, s7, v34 :: v_dual_mul_f32 v38, s7, v36
	v_mul_f32_e64 v37, v36, -s3
	s_waitcnt vmcnt(0)
	v_mul_f32_e64 v39, v5, -s3
	v_mul_f32_e32 v40, s7, v5
	v_fmac_f32_e32 v14, s7, v33
	v_dual_fmac_f32 v15, s3, v33 :: v_dual_fmac_f32 v38, s3, v35
	v_fmac_f32_e32 v37, s7, v35
	v_fmac_f32_e32 v39, s7, v4
	v_fmac_f32_e32 v40, s3, v4
	ds_store_2addr_b64 v6, v[14:15], v[37:38] offset0:1 offset1:2
	ds_store_b64 v6, v[39:40] offset:24
.LBB16_22:                              ;   in Loop: Header=BB16_15 Depth=2
	s_or_b32 exec_lo, exec_lo, s25
	s_mov_b32 s25, -1
	s_and_saveexec_b32 s26, s0
	s_cbranch_execz .LBB16_14
; %bb.23:                               ;   in Loop: Header=BB16_15 Depth=2
	v_add_nc_u32_e32 v8, 32, v8
	v_add_nc_u32_e32 v12, 0x80, v12
	s_delay_alu instid0(VALU_DEP_2)
	v_cmp_ge_i32_e32 vcc_lo, v8, v18
	s_or_not1_b32 s25, vcc_lo, exec_lo
	s_branch .LBB16_14
.LBB16_24:                              ;   in Loop: Header=BB16_12 Depth=1
	s_or_b32 exec_lo, exec_lo, s11
.LBB16_25:                              ;   in Loop: Header=BB16_12 Depth=1
	s_delay_alu instid0(SALU_CYCLE_1) | instskip(NEXT) | instid1(SALU_CYCLE_1)
	s_or_b32 exec_lo, exec_lo, s9
	s_mov_b32 s9, exec_lo
	s_waitcnt lgkmcnt(0)
	buffer_gl0_inv
	v_cmpx_lt_i32_e64 v10, v19
	s_cbranch_execz .LBB16_38
; %bb.26:                               ;   in Loop: Header=BB16_12 Depth=1
	v_lshlrev_b32_e32 v12, 2, v10
	s_mov_b32 s11, 0
	s_branch .LBB16_28
.LBB16_27:                              ;   in Loop: Header=BB16_28 Depth=2
	s_or_b32 exec_lo, exec_lo, s26
	s_delay_alu instid0(SALU_CYCLE_1) | instskip(NEXT) | instid1(SALU_CYCLE_1)
	s_and_b32 s0, exec_lo, s25
	s_or_b32 s11, s0, s11
	s_delay_alu instid0(SALU_CYCLE_1)
	s_and_not1_b32 exec_lo, exec_lo, s11
	s_cbranch_execz .LBB16_37
.LBB16_28:                              ;   Parent Loop BB16_12 Depth=1
                                        ; =>  This Inner Loop Header: Depth=2
	v_ashrrev_i32_e32 v11, 31, v10
	s_mov_b32 s25, exec_lo
	s_delay_alu instid0(VALU_DEP_1) | instskip(NEXT) | instid1(VALU_DEP_1)
	v_lshlrev_b64 v[4:5], 2, v[10:11]
	v_add_co_u32 v4, vcc_lo, s18, v4
	s_delay_alu instid0(VALU_DEP_2) | instskip(SKIP_3) | instid1(VALU_DEP_1)
	v_add_co_ci_u32_e32 v5, vcc_lo, s19, v5, vcc_lo
	global_load_b32 v4, v[4:5], off
	s_waitcnt vmcnt(0)
	v_subrev_nc_u32_e32 v4, s5, v4
	v_sub_nc_u32_e32 v11, v4, v24
	s_delay_alu instid0(VALU_DEP_1)
	v_cmp_gt_u32_e64 s0, 32, v11
	v_cmpx_lt_u32_e32 31, v11
	s_xor_b32 s25, exec_lo, s25
; %bb.29:                               ;   in Loop: Header=BB16_28 Depth=2
	v_min_i32_e32 v32, v4, v32
                                        ; implicit-def: $vgpr11
; %bb.30:                               ;   in Loop: Header=BB16_28 Depth=2
	s_and_not1_saveexec_b32 s25, s25
	s_cbranch_execz .LBB16_35
; %bb.31:                               ;   in Loop: Header=BB16_28 Depth=2
	v_lshlrev_b64 v[4:5], 3, v[12:13]
	s_delay_alu instid0(VALU_DEP_1) | instskip(NEXT) | instid1(VALU_DEP_2)
	v_add_co_u32 v14, vcc_lo, s16, v4
	v_add_co_ci_u32_e32 v15, vcc_lo, s17, v5, vcc_lo
	s_and_not1_b32 vcc_lo, exec_lo, s1
	global_load_b64 v[33:34], v[14:15], off
	v_lshlrev_b32_e32 v4, 5, v11
	v_add_nc_u32_e32 v11, v17, v11
	s_delay_alu instid0(VALU_DEP_2) | instskip(SKIP_4) | instid1(VALU_DEP_2)
	v_add_nc_u32_e32 v9, v16, v4
	ds_load_b128 v[4:7], v9
	s_waitcnt vmcnt(0) lgkmcnt(0)
	v_fma_f32 v4, s2, v33, v4
	v_fma_f32 v5, s29, v33, v5
	v_fma_f32 v4, -s29, v34, v4
	s_delay_alu instid0(VALU_DEP_2)
	v_fmac_f32_e32 v5, s2, v34
	ds_store_b8 v11, v31
	ds_store_b64 v9, v[4:5]
	s_cbranch_vccnz .LBB16_33
; %bb.32:                               ;   in Loop: Header=BB16_28 Depth=2
	s_clause 0x1
	global_load_b128 v[33:36], v[14:15], off offset:8
	global_load_b64 v[4:5], v[14:15], off offset:24
	ds_load_b128 v[37:40], v9 offset:16
	s_waitcnt vmcnt(1)
	v_fma_f32 v11, s2, v35, v6
	v_fma_f32 v42, s29, v35, v7
	s_waitcnt lgkmcnt(0)
	v_fma_f32 v35, s2, v33, v37
	v_fma_f32 v37, s29, v33, v38
	s_waitcnt vmcnt(0)
	v_fma_f32 v33, s2, v4, v39
	v_fmac_f32_e32 v40, s29, v4
	v_fma_f32 v41, -s29, v36, v11
	v_dual_fmac_f32 v42, s2, v36 :: v_dual_fmac_f32 v37, s2, v34
	v_fma_f32 v36, -s29, v34, v35
	v_fma_f32 v39, -s29, v5, v33
	v_fmac_f32_e32 v40, s2, v5
	ds_store_2addr_b64 v9, v[41:42], v[36:37] offset0:1 offset1:2
	ds_store_b64 v9, v[39:40] offset:24
	s_cbranch_execz .LBB16_34
	s_branch .LBB16_35
.LBB16_33:                              ;   in Loop: Header=BB16_28 Depth=2
.LBB16_34:                              ;   in Loop: Header=BB16_28 Depth=2
	s_clause 0x1
	global_load_b128 v[33:36], v[14:15], off offset:8
	global_load_b64 v[4:5], v[14:15], off offset:24
	ds_load_b128 v[37:40], v9 offset:16
	s_waitcnt vmcnt(1)
	v_fma_f32 v6, s2, v33, v6
	s_waitcnt vmcnt(0) lgkmcnt(0)
	v_dual_fmac_f32 v7, s29, v33 :: v_dual_fmac_f32 v40, s29, v4
	v_fma_f32 v11, s2, v35, v37
	v_fma_f32 v15, s29, v35, v38
	;; [unrolled: 1-line block ×3, first 2 shown]
	s_delay_alu instid0(VALU_DEP_4)
	v_dual_fmac_f32 v7, s2, v34 :: v_dual_fmac_f32 v40, s2, v5
	v_fma_f32 v6, -s29, v34, v6
	v_fma_f32 v14, -s29, v36, v11
	v_fmac_f32_e32 v15, s2, v36
	v_fma_f32 v39, -s29, v5, v33
	ds_store_2addr_b64 v9, v[6:7], v[14:15] offset0:1 offset1:2
	ds_store_b64 v9, v[39:40] offset:24
.LBB16_35:                              ;   in Loop: Header=BB16_28 Depth=2
	s_or_b32 exec_lo, exec_lo, s25
	s_mov_b32 s25, -1
	s_and_saveexec_b32 s26, s0
	s_cbranch_execz .LBB16_27
; %bb.36:                               ;   in Loop: Header=BB16_28 Depth=2
	v_add_nc_u32_e32 v10, 32, v10
	v_add_nc_u32_e32 v12, 0x80, v12
	s_delay_alu instid0(VALU_DEP_2)
	v_cmp_ge_i32_e32 vcc_lo, v10, v19
	s_or_not1_b32 s25, vcc_lo, exec_lo
	s_branch .LBB16_27
.LBB16_37:                              ;   in Loop: Header=BB16_12 Depth=1
	s_or_b32 exec_lo, exec_lo, s11
.LBB16_38:                              ;   in Loop: Header=BB16_12 Depth=1
	s_delay_alu instid0(SALU_CYCLE_1)
	s_or_b32 exec_lo, exec_lo, s9
	s_waitcnt lgkmcnt(0)
	buffer_gl0_inv
	ds_load_u8 v4, v30
	s_mov_b32 s9, exec_lo
	s_waitcnt lgkmcnt(0)
	v_and_b32_e32 v5, 1, v4
	v_cmp_ne_u16_e32 vcc_lo, 0, v4
	s_delay_alu instid0(VALU_DEP_2)
	v_cmpx_eq_u32_e32 1, v5
	s_cbranch_execz .LBB16_11
; %bb.39:                               ;   in Loop: Header=BB16_12 Depth=1
	ds_load_2addr_b64 v[4:7], v25 offset1:3
	v_and_b32_e32 v9, vcc_lo, v21
	s_waitcnt lgkmcnt(0)
	v_dual_mov_b32 v34, v5 :: v_dual_add_nc_u32 v11, s8, v25
	s_delay_alu instid0(VALU_DEP_2) | instskip(NEXT) | instid1(VALU_DEP_1)
	v_bcnt_u32_b32 v9, v9, 0
	v_add3_u32 v14, v20, v9, -1
	v_add_nc_u32_e32 v9, s6, v25
	v_mov_b32_e32 v33, v4
	ds_load_b64 v[35:36], v9
	ds_load_b64 v[4:5], v11
	v_lshlrev_b32_e32 v12, 2, v14
	v_ashrrev_i32_e32 v15, 31, v14
	v_add_nc_u32_e32 v9, v22, v24
	s_delay_alu instid0(VALU_DEP_3) | instskip(NEXT) | instid1(VALU_DEP_3)
	v_lshlrev_b64 v[11:12], 3, v[12:13]
	v_lshlrev_b64 v[14:15], 2, v[14:15]
	s_delay_alu instid0(VALU_DEP_1) | instskip(NEXT) | instid1(VALU_DEP_1)
	v_add_co_u32 v14, s0, s20, v14
	v_add_co_ci_u32_e64 v15, s0, s21, v15, s0
	s_delay_alu instid0(VALU_DEP_4) | instskip(NEXT) | instid1(VALU_DEP_1)
	v_add_co_u32 v11, s0, s22, v11
	v_add_co_ci_u32_e64 v12, s0, s23, v12, s0
	global_store_b32 v[14:15], v9, off
	s_waitcnt lgkmcnt(1)
	global_store_b128 v[11:12], v[33:36], off
	s_waitcnt lgkmcnt(0)
	global_store_b128 v[11:12], v[4:7], off offset:16
	s_branch .LBB16_11
.LBB16_40:
	s_nop 0
	s_sendmsg sendmsg(MSG_DEALLOC_VGPRS)
	s_endpgm
.LBB16_41:
	s_load_b32 s7, s[2:3], 0x0
	v_cndmask_b32_e64 v1, 0, 1, s8
	s_and_not1_b32 vcc_lo, exec_lo, s8
	s_cbranch_vccnz .LBB16_2
.LBB16_42:
	s_load_b32 s3, s[2:3], 0x4
	s_delay_alu instid0(VALU_DEP_1)
	v_cmp_ne_u32_e32 vcc_lo, 1, v1
	s_mov_b32 s2, s28
	s_cbranch_vccnz .LBB16_3
.LBB16_43:
	s_load_b32 s2, s[28:29], 0x0
	v_cmp_ne_u32_e32 vcc_lo, 1, v1
	s_cbranch_vccz .LBB16_4
	s_branch .LBB16_5
	.section	.rodata,"a",@progbits
	.p2align	6, 0x0
	.amdhsa_kernel _ZN9rocsparseL39bsrgeam_wf_per_row_multipass_2_3_kernelILj256ELj2ELj32E21rocsparse_complex_numIfEEEv20rocsparse_direction_iiiNS_24const_host_device_scalarIT2_EEPKiS8_PKS5_S6_S8_S8_SA_S8_PiPS5_21rocsparse_index_base_SD_SD_b
		.amdhsa_group_segment_fixed_size 8448
		.amdhsa_private_segment_fixed_size 0
		.amdhsa_kernarg_size 120
		.amdhsa_user_sgpr_count 15
		.amdhsa_user_sgpr_dispatch_ptr 0
		.amdhsa_user_sgpr_queue_ptr 0
		.amdhsa_user_sgpr_kernarg_segment_ptr 1
		.amdhsa_user_sgpr_dispatch_id 0
		.amdhsa_user_sgpr_private_segment_size 0
		.amdhsa_wavefront_size32 1
		.amdhsa_uses_dynamic_stack 0
		.amdhsa_enable_private_segment 0
		.amdhsa_system_sgpr_workgroup_id_x 1
		.amdhsa_system_sgpr_workgroup_id_y 0
		.amdhsa_system_sgpr_workgroup_id_z 0
		.amdhsa_system_sgpr_workgroup_info 0
		.amdhsa_system_vgpr_workitem_id 0
		.amdhsa_next_free_vgpr 43
		.amdhsa_next_free_sgpr 30
		.amdhsa_reserve_vcc 1
		.amdhsa_float_round_mode_32 0
		.amdhsa_float_round_mode_16_64 0
		.amdhsa_float_denorm_mode_32 3
		.amdhsa_float_denorm_mode_16_64 3
		.amdhsa_dx10_clamp 1
		.amdhsa_ieee_mode 1
		.amdhsa_fp16_overflow 0
		.amdhsa_workgroup_processor_mode 1
		.amdhsa_memory_ordered 1
		.amdhsa_forward_progress 0
		.amdhsa_shared_vgpr_count 0
		.amdhsa_exception_fp_ieee_invalid_op 0
		.amdhsa_exception_fp_denorm_src 0
		.amdhsa_exception_fp_ieee_div_zero 0
		.amdhsa_exception_fp_ieee_overflow 0
		.amdhsa_exception_fp_ieee_underflow 0
		.amdhsa_exception_fp_ieee_inexact 0
		.amdhsa_exception_int_div_zero 0
	.end_amdhsa_kernel
	.section	.text._ZN9rocsparseL39bsrgeam_wf_per_row_multipass_2_3_kernelILj256ELj2ELj32E21rocsparse_complex_numIfEEEv20rocsparse_direction_iiiNS_24const_host_device_scalarIT2_EEPKiS8_PKS5_S6_S8_S8_SA_S8_PiPS5_21rocsparse_index_base_SD_SD_b,"axG",@progbits,_ZN9rocsparseL39bsrgeam_wf_per_row_multipass_2_3_kernelILj256ELj2ELj32E21rocsparse_complex_numIfEEEv20rocsparse_direction_iiiNS_24const_host_device_scalarIT2_EEPKiS8_PKS5_S6_S8_S8_SA_S8_PiPS5_21rocsparse_index_base_SD_SD_b,comdat
.Lfunc_end16:
	.size	_ZN9rocsparseL39bsrgeam_wf_per_row_multipass_2_3_kernelILj256ELj2ELj32E21rocsparse_complex_numIfEEEv20rocsparse_direction_iiiNS_24const_host_device_scalarIT2_EEPKiS8_PKS5_S6_S8_S8_SA_S8_PiPS5_21rocsparse_index_base_SD_SD_b, .Lfunc_end16-_ZN9rocsparseL39bsrgeam_wf_per_row_multipass_2_3_kernelILj256ELj2ELj32E21rocsparse_complex_numIfEEEv20rocsparse_direction_iiiNS_24const_host_device_scalarIT2_EEPKiS8_PKS5_S6_S8_S8_SA_S8_PiPS5_21rocsparse_index_base_SD_SD_b
                                        ; -- End function
	.section	.AMDGPU.csdata,"",@progbits
; Kernel info:
; codeLenInByte = 2244
; NumSgprs: 32
; NumVgprs: 43
; ScratchSize: 0
; MemoryBound: 0
; FloatMode: 240
; IeeeMode: 1
; LDSByteSize: 8448 bytes/workgroup (compile time only)
; SGPRBlocks: 3
; VGPRBlocks: 5
; NumSGPRsForWavesPerEU: 32
; NumVGPRsForWavesPerEU: 43
; Occupancy: 16
; WaveLimiterHint : 1
; COMPUTE_PGM_RSRC2:SCRATCH_EN: 0
; COMPUTE_PGM_RSRC2:USER_SGPR: 15
; COMPUTE_PGM_RSRC2:TRAP_HANDLER: 0
; COMPUTE_PGM_RSRC2:TGID_X_EN: 1
; COMPUTE_PGM_RSRC2:TGID_Y_EN: 0
; COMPUTE_PGM_RSRC2:TGID_Z_EN: 0
; COMPUTE_PGM_RSRC2:TIDIG_COMP_CNT: 0
	.section	.text._ZN9rocsparseL39bsrgeam_wf_per_row_multipass_2_3_kernelILj256ELj2ELj64E21rocsparse_complex_numIfEEEv20rocsparse_direction_iiiNS_24const_host_device_scalarIT2_EEPKiS8_PKS5_S6_S8_S8_SA_S8_PiPS5_21rocsparse_index_base_SD_SD_b,"axG",@progbits,_ZN9rocsparseL39bsrgeam_wf_per_row_multipass_2_3_kernelILj256ELj2ELj64E21rocsparse_complex_numIfEEEv20rocsparse_direction_iiiNS_24const_host_device_scalarIT2_EEPKiS8_PKS5_S6_S8_S8_SA_S8_PiPS5_21rocsparse_index_base_SD_SD_b,comdat
	.globl	_ZN9rocsparseL39bsrgeam_wf_per_row_multipass_2_3_kernelILj256ELj2ELj64E21rocsparse_complex_numIfEEEv20rocsparse_direction_iiiNS_24const_host_device_scalarIT2_EEPKiS8_PKS5_S6_S8_S8_SA_S8_PiPS5_21rocsparse_index_base_SD_SD_b ; -- Begin function _ZN9rocsparseL39bsrgeam_wf_per_row_multipass_2_3_kernelILj256ELj2ELj64E21rocsparse_complex_numIfEEEv20rocsparse_direction_iiiNS_24const_host_device_scalarIT2_EEPKiS8_PKS5_S6_S8_S8_SA_S8_PiPS5_21rocsparse_index_base_SD_SD_b
	.p2align	8
	.type	_ZN9rocsparseL39bsrgeam_wf_per_row_multipass_2_3_kernelILj256ELj2ELj64E21rocsparse_complex_numIfEEEv20rocsparse_direction_iiiNS_24const_host_device_scalarIT2_EEPKiS8_PKS5_S6_S8_S8_SA_S8_PiPS5_21rocsparse_index_base_SD_SD_b,@function
_ZN9rocsparseL39bsrgeam_wf_per_row_multipass_2_3_kernelILj256ELj2ELj64E21rocsparse_complex_numIfEEEv20rocsparse_direction_iiiNS_24const_host_device_scalarIT2_EEPKiS8_PKS5_S6_S8_S8_SA_S8_PiPS5_21rocsparse_index_base_SD_SD_b: ; @_ZN9rocsparseL39bsrgeam_wf_per_row_multipass_2_3_kernelILj256ELj2ELj64E21rocsparse_complex_numIfEEEv20rocsparse_direction_iiiNS_24const_host_device_scalarIT2_EEPKiS8_PKS5_S6_S8_S8_SA_S8_PiPS5_21rocsparse_index_base_SD_SD_b
; %bb.0:
	s_clause 0x2
	s_load_b128 s[4:7], s[0:1], 0x68
	s_load_b64 s[2:3], s[0:1], 0x10
	s_load_b64 s[28:29], s[0:1], 0x30
	s_waitcnt lgkmcnt(0)
	s_bitcmp1_b32 s7, 0
	s_cselect_b32 s7, -1, 0
	s_delay_alu instid0(SALU_CYCLE_1)
	s_xor_b32 s8, s7, -1
	s_and_b32 vcc_lo, exec_lo, s7
	s_mov_b32 s7, s2
	s_cbranch_vccz .LBB17_41
; %bb.1:
	v_cndmask_b32_e64 v1, 0, 1, s8
	s_and_not1_b32 vcc_lo, exec_lo, s8
	s_cbranch_vccz .LBB17_42
.LBB17_2:
	s_delay_alu instid0(VALU_DEP_1)
	v_cmp_ne_u32_e32 vcc_lo, 1, v1
	s_mov_b32 s2, s28
	s_cbranch_vccz .LBB17_43
.LBB17_3:
	v_cmp_ne_u32_e32 vcc_lo, 1, v1
	s_cbranch_vccnz .LBB17_5
.LBB17_4:
	s_load_b32 s29, s[28:29], 0x4
.LBB17_5:
	s_load_b128 s[8:11], s[0:1], 0x0
	v_lshrrev_b32_e32 v7, 6, v0
	s_waitcnt lgkmcnt(0)
	s_lshl_b32 s11, s15, 2
	s_delay_alu instid0(VALU_DEP_1) | instid1(SALU_CYCLE_1)
	v_and_or_b32 v1, 0x3fffffc, s11, v7
	s_delay_alu instid0(VALU_DEP_1)
	v_cmp_gt_i32_e32 vcc_lo, s9, v1
	s_and_saveexec_b32 s9, vcc_lo
	s_cbranch_execz .LBB17_40
; %bb.6:
	s_clause 0x2
	s_load_b128 s[12:15], s[0:1], 0x18
	s_load_b128 s[16:19], s[0:1], 0x38
	s_load_b64 s[20:21], s[0:1], 0x50
	v_lshlrev_b32_e32 v1, 2, v1
	s_waitcnt lgkmcnt(0)
	s_clause 0x2
	global_load_b64 v[5:6], v1, s[12:13]
	global_load_b64 v[3:4], v1, s[16:17]
	global_load_b32 v8, v1, s[20:21]
	s_waitcnt vmcnt(2)
	v_subrev_nc_u32_e32 v1, s4, v5
	v_cmp_lt_i32_e32 vcc_lo, v5, v6
	v_mov_b32_e32 v5, s10
	s_and_saveexec_b32 s9, vcc_lo
	s_cbranch_execz .LBB17_8
; %bb.7:
	v_ashrrev_i32_e32 v2, 31, v1
	s_delay_alu instid0(VALU_DEP_1) | instskip(NEXT) | instid1(VALU_DEP_1)
	v_lshlrev_b64 v[9:10], 2, v[1:2]
	v_add_co_u32 v9, vcc_lo, s14, v9
	s_delay_alu instid0(VALU_DEP_2)
	v_add_co_ci_u32_e32 v10, vcc_lo, s15, v10, vcc_lo
	global_load_b32 v2, v[9:10], off
	s_waitcnt vmcnt(0)
	v_subrev_nc_u32_e32 v5, s4, v2
.LBB17_8:
	s_or_b32 exec_lo, exec_lo, s9
	s_clause 0x2
	s_load_b128 s[20:23], s[0:1], 0x58
	s_load_b64 s[12:13], s[0:1], 0x28
	s_load_b64 s[16:17], s[0:1], 0x48
	s_waitcnt vmcnt(1)
	v_subrev_nc_u32_e32 v2, s5, v3
	v_cmp_lt_i32_e32 vcc_lo, v3, v4
	v_mov_b32_e32 v3, s10
	s_and_saveexec_b32 s0, vcc_lo
	s_cbranch_execz .LBB17_10
; %bb.9:
	v_ashrrev_i32_e32 v3, 31, v2
	s_delay_alu instid0(VALU_DEP_1) | instskip(NEXT) | instid1(VALU_DEP_1)
	v_lshlrev_b64 v[9:10], 2, v[2:3]
	v_add_co_u32 v9, vcc_lo, s18, v9
	s_delay_alu instid0(VALU_DEP_2)
	v_add_co_ci_u32_e32 v10, vcc_lo, s19, v10, vcc_lo
	global_load_b32 v3, v[9:10], off
	s_waitcnt vmcnt(0)
	v_subrev_nc_u32_e32 v3, s5, v3
.LBB17_10:
	s_or_b32 exec_lo, exec_lo, s0
	s_movk_i32 s0, 0xc0
	v_subrev_nc_u32_e32 v20, s5, v4
	v_and_or_b32 v18, v0, s0, 0x2000
	v_mbcnt_lo_u32_b32 v4, -1, 0
	v_and_b32_e32 v0, 63, v0
	s_waitcnt vmcnt(0)
	v_subrev_nc_u32_e32 v21, s6, v8
	v_min_i32_e32 v25, v3, v5
	v_subrev_nc_u32_e32 v19, s4, v6
	v_xor_b32_e32 v3, 4, v4
	v_add_nc_u32_e32 v8, v1, v0
	v_or_b32_e32 v1, 32, v4
	v_xor_b32_e32 v6, 1, v4
	v_xor_b32_e32 v5, 2, v4
	s_mov_b32 s24, 0
	s_cmp_lg_u32 s8, 0
	v_cmp_gt_i32_e32 vcc_lo, 32, v1
	s_mov_b32 s25, s24
	s_mov_b32 s26, s24
	;; [unrolled: 1-line block ×3, first 2 shown]
	v_dual_mov_b32 v32, 1 :: v_dual_cndmask_b32 v1, v4, v1
	v_add_nc_u32_e32 v10, v2, v0
	v_xor_b32_e32 v2, 63, v0
	v_add_nc_u32_e32 v31, v18, v0
	s_cselect_b32 s1, -1, 0
	v_lshlrev_b32_e32 v23, 2, v1
	v_xor_b32_e32 v1, 8, v4
	v_lshrrev_b64 v[12:13], v2, -1
	v_xor_b32_e32 v2, 16, v4
	s_cmp_eq_u32 s8, 0
	v_mov_b32_e32 v14, 0
	s_cselect_b32 s8, 16, 8
	s_delay_alu instid0(VALU_DEP_2) | instskip(SKIP_2) | instid1(VALU_DEP_2)
	v_cmp_gt_i32_e32 vcc_lo, 32, v2
	v_dual_cndmask_b32 v2, v4, v2 :: v_dual_lshlrev_b32 v17, 11, v7
	v_cmp_gt_i32_e32 vcc_lo, 32, v1
	v_lshl_or_b32 v24, v0, 5, v17
	s_delay_alu instid0(VALU_DEP_3) | instskip(SKIP_1) | instid1(VALU_DEP_2)
	v_dual_cndmask_b32 v1, v4, v1 :: v_dual_lshlrev_b32 v26, 2, v2
	v_cmp_gt_i32_e32 vcc_lo, 32, v3
	v_lshlrev_b32_e32 v27, 2, v1
	v_cndmask_b32_e32 v3, v4, v3, vcc_lo
	v_cmp_gt_i32_e32 vcc_lo, 32, v5
	v_add_nc_u32_e32 v22, s6, v0
	s_cselect_b32 s6, 8, 16
	s_delay_alu instid0(VALU_DEP_3) | instskip(SKIP_3) | instid1(VALU_DEP_4)
	v_dual_cndmask_b32 v5, v4, v5 :: v_dual_lshlrev_b32 v28, 2, v3
	v_cmp_gt_i32_e32 vcc_lo, 32, v6
	v_dual_mov_b32 v0, s24 :: v_dual_mov_b32 v3, s27
	v_mov_b32_e32 v1, s25
	v_dual_cndmask_b32 v4, v4, v6 :: v_dual_lshlrev_b32 v29, 2, v5
	v_mov_b32_e32 v2, s26
	s_delay_alu instid0(VALU_DEP_2)
	v_lshlrev_b32_e32 v30, 2, v4
	s_branch .LBB17_12
.LBB17_11:                              ;   in Loop: Header=BB17_12 Depth=1
	s_or_b32 exec_lo, exec_lo, s9
	ds_bpermute_b32 v4, v23, v33
	s_bcnt1_i32_b32 s9, vcc_lo
	s_delay_alu instid0(SALU_CYCLE_1)
	v_add_nc_u32_e32 v21, s9, v21
	s_waitcnt lgkmcnt(0)
	v_min_i32_e32 v4, v4, v33
	ds_bpermute_b32 v5, v26, v4
	s_waitcnt lgkmcnt(0)
	v_min_i32_e32 v4, v5, v4
	ds_bpermute_b32 v5, v27, v4
	;; [unrolled: 3-line block ×5, first 2 shown]
	s_waitcnt lgkmcnt(0)
	v_min_i32_e32 v25, v5, v4
	s_delay_alu instid0(VALU_DEP_1) | instskip(NEXT) | instid1(VALU_DEP_1)
	v_cmp_le_i32_e64 s0, s10, v25
	s_or_b32 s24, s0, s24
	s_delay_alu instid0(SALU_CYCLE_1)
	s_and_not1_b32 exec_lo, exec_lo, s24
	s_cbranch_execz .LBB17_40
.LBB17_12:                              ; =>This Loop Header: Depth=1
                                        ;     Child Loop BB17_15 Depth 2
                                        ;     Child Loop BB17_28 Depth 2
	v_mov_b32_e32 v33, s10
	s_mov_b32 s9, exec_lo
	ds_store_b8 v31, v14
	ds_store_b128 v24, v[0:3]
	ds_store_b128 v24, v[0:3] offset:16
	s_waitcnt lgkmcnt(0)
	buffer_gl0_inv
	v_cmpx_lt_i32_e64 v8, v19
	s_cbranch_execz .LBB17_25
; %bb.13:                               ;   in Loop: Header=BB17_12 Depth=1
	v_lshlrev_b32_e32 v13, 2, v8
	v_mov_b32_e32 v33, s10
	s_mov_b32 s11, 0
	s_branch .LBB17_15
.LBB17_14:                              ;   in Loop: Header=BB17_15 Depth=2
	s_or_b32 exec_lo, exec_lo, s26
	s_delay_alu instid0(SALU_CYCLE_1) | instskip(NEXT) | instid1(SALU_CYCLE_1)
	s_and_b32 s0, exec_lo, s25
	s_or_b32 s11, s0, s11
	s_delay_alu instid0(SALU_CYCLE_1)
	s_and_not1_b32 exec_lo, exec_lo, s11
	s_cbranch_execz .LBB17_24
.LBB17_15:                              ;   Parent Loop BB17_12 Depth=1
                                        ; =>  This Inner Loop Header: Depth=2
	v_ashrrev_i32_e32 v9, 31, v8
	s_mov_b32 s25, exec_lo
	s_delay_alu instid0(VALU_DEP_1) | instskip(NEXT) | instid1(VALU_DEP_1)
	v_lshlrev_b64 v[4:5], 2, v[8:9]
	v_add_co_u32 v4, vcc_lo, s14, v4
	s_delay_alu instid0(VALU_DEP_2) | instskip(SKIP_3) | instid1(VALU_DEP_1)
	v_add_co_ci_u32_e32 v5, vcc_lo, s15, v5, vcc_lo
	global_load_b32 v4, v[4:5], off
	s_waitcnt vmcnt(0)
	v_subrev_nc_u32_e32 v4, s4, v4
	v_sub_nc_u32_e32 v6, v4, v25
	s_delay_alu instid0(VALU_DEP_1)
	v_cmp_gt_u32_e64 s0, 64, v6
	v_cmpx_lt_u32_e32 63, v6
	s_xor_b32 s25, exec_lo, s25
; %bb.16:                               ;   in Loop: Header=BB17_15 Depth=2
	v_min_i32_e32 v33, v4, v33
                                        ; implicit-def: $vgpr6
; %bb.17:                               ;   in Loop: Header=BB17_15 Depth=2
	s_and_not1_saveexec_b32 s25, s25
	s_cbranch_execz .LBB17_22
; %bb.18:                               ;   in Loop: Header=BB17_15 Depth=2
	v_lshlrev_b64 v[4:5], 3, v[13:14]
	v_lshlrev_b32_e32 v7, 5, v6
	v_add_nc_u32_e32 v9, v18, v6
	s_delay_alu instid0(VALU_DEP_2) | instskip(NEXT) | instid1(VALU_DEP_4)
	v_add_nc_u32_e32 v6, v17, v7
	v_add_co_u32 v4, vcc_lo, s12, v4
	v_add_co_ci_u32_e32 v5, vcc_lo, s13, v5, vcc_lo
	s_and_not1_b32 vcc_lo, exec_lo, s1
	global_load_b64 v[15:16], v[4:5], off
	s_waitcnt vmcnt(0)
	v_mul_f32_e64 v34, v16, -s3
	s_delay_alu instid0(VALU_DEP_1) | instskip(NEXT) | instid1(VALU_DEP_1)
	v_dual_mul_f32 v35, s7, v16 :: v_dual_fmac_f32 v34, s7, v15
	v_fmac_f32_e32 v35, s3, v15
	ds_store_b8 v9, v32
	ds_store_b64 v6, v[34:35]
	s_cbranch_vccnz .LBB17_20
; %bb.19:                               ;   in Loop: Header=BB17_15 Depth=2
	s_clause 0x1
	global_load_b128 v[34:37], v[4:5], off offset:8
	global_load_b64 v[15:16], v[4:5], off offset:24
	s_waitcnt vmcnt(1)
	v_mul_f32_e64 v38, v37, -s3
	v_mul_f32_e32 v39, s7, v37
	v_mul_f32_e64 v40, v35, -s3
	v_mul_f32_e32 v41, s7, v35
	s_waitcnt vmcnt(0)
	v_mul_f32_e64 v42, v16, -s3
	v_mul_f32_e32 v43, s7, v16
	v_fmac_f32_e32 v38, s7, v36
	v_dual_fmac_f32 v39, s3, v36 :: v_dual_fmac_f32 v40, s7, v34
	s_delay_alu instid0(VALU_DEP_4) | instskip(NEXT) | instid1(VALU_DEP_4)
	v_dual_fmac_f32 v42, s7, v15 :: v_dual_fmac_f32 v41, s3, v34
	v_fmac_f32_e32 v43, s3, v15
	ds_store_2addr_b64 v6, v[38:39], v[40:41] offset0:1 offset1:2
	ds_store_b64 v6, v[42:43] offset:24
	s_cbranch_execz .LBB17_21
	s_branch .LBB17_22
.LBB17_20:                              ;   in Loop: Header=BB17_15 Depth=2
.LBB17_21:                              ;   in Loop: Header=BB17_15 Depth=2
	s_clause 0x1
	global_load_b128 v[34:37], v[4:5], off offset:8
	global_load_b64 v[4:5], v[4:5], off offset:24
	s_waitcnt vmcnt(1)
	v_mul_f32_e64 v15, v35, -s3
	v_dual_mul_f32 v16, s7, v35 :: v_dual_mul_f32 v39, s7, v37
	v_mul_f32_e64 v38, v37, -s3
	s_waitcnt vmcnt(0)
	v_mul_f32_e64 v40, v5, -s3
	s_delay_alu instid0(VALU_DEP_3) | instskip(NEXT) | instid1(VALU_DEP_3)
	v_dual_mul_f32 v41, s7, v5 :: v_dual_fmac_f32 v16, s3, v34
	v_dual_fmac_f32 v15, s7, v34 :: v_dual_fmac_f32 v38, s7, v36
	v_fmac_f32_e32 v39, s3, v36
	s_delay_alu instid0(VALU_DEP_4) | instskip(NEXT) | instid1(VALU_DEP_4)
	v_fmac_f32_e32 v40, s7, v4
	v_fmac_f32_e32 v41, s3, v4
	ds_store_2addr_b64 v6, v[15:16], v[38:39] offset0:1 offset1:2
	ds_store_b64 v6, v[40:41] offset:24
.LBB17_22:                              ;   in Loop: Header=BB17_15 Depth=2
	s_or_b32 exec_lo, exec_lo, s25
	s_mov_b32 s25, -1
	s_and_saveexec_b32 s26, s0
	s_cbranch_execz .LBB17_14
; %bb.23:                               ;   in Loop: Header=BB17_15 Depth=2
	v_add_nc_u32_e32 v8, 64, v8
	v_add_nc_u32_e32 v13, 0x100, v13
	s_delay_alu instid0(VALU_DEP_2)
	v_cmp_ge_i32_e32 vcc_lo, v8, v19
	s_or_not1_b32 s25, vcc_lo, exec_lo
	s_branch .LBB17_14
.LBB17_24:                              ;   in Loop: Header=BB17_12 Depth=1
	s_or_b32 exec_lo, exec_lo, s11
.LBB17_25:                              ;   in Loop: Header=BB17_12 Depth=1
	s_delay_alu instid0(SALU_CYCLE_1) | instskip(NEXT) | instid1(SALU_CYCLE_1)
	s_or_b32 exec_lo, exec_lo, s9
	s_mov_b32 s9, exec_lo
	s_waitcnt lgkmcnt(0)
	buffer_gl0_inv
	v_cmpx_lt_i32_e64 v10, v20
	s_cbranch_execz .LBB17_38
; %bb.26:                               ;   in Loop: Header=BB17_12 Depth=1
	v_lshlrev_b32_e32 v13, 2, v10
	s_mov_b32 s11, 0
	s_branch .LBB17_28
.LBB17_27:                              ;   in Loop: Header=BB17_28 Depth=2
	s_or_b32 exec_lo, exec_lo, s26
	s_delay_alu instid0(SALU_CYCLE_1) | instskip(NEXT) | instid1(SALU_CYCLE_1)
	s_and_b32 s0, exec_lo, s25
	s_or_b32 s11, s0, s11
	s_delay_alu instid0(SALU_CYCLE_1)
	s_and_not1_b32 exec_lo, exec_lo, s11
	s_cbranch_execz .LBB17_37
.LBB17_28:                              ;   Parent Loop BB17_12 Depth=1
                                        ; =>  This Inner Loop Header: Depth=2
	v_ashrrev_i32_e32 v11, 31, v10
	s_mov_b32 s25, exec_lo
	s_delay_alu instid0(VALU_DEP_1) | instskip(NEXT) | instid1(VALU_DEP_1)
	v_lshlrev_b64 v[4:5], 2, v[10:11]
	v_add_co_u32 v4, vcc_lo, s18, v4
	s_delay_alu instid0(VALU_DEP_2) | instskip(SKIP_3) | instid1(VALU_DEP_1)
	v_add_co_ci_u32_e32 v5, vcc_lo, s19, v5, vcc_lo
	global_load_b32 v4, v[4:5], off
	s_waitcnt vmcnt(0)
	v_subrev_nc_u32_e32 v4, s5, v4
	v_sub_nc_u32_e32 v11, v4, v25
	s_delay_alu instid0(VALU_DEP_1)
	v_cmp_gt_u32_e64 s0, 64, v11
	v_cmpx_lt_u32_e32 63, v11
	s_xor_b32 s25, exec_lo, s25
; %bb.29:                               ;   in Loop: Header=BB17_28 Depth=2
	v_min_i32_e32 v33, v4, v33
                                        ; implicit-def: $vgpr11
; %bb.30:                               ;   in Loop: Header=BB17_28 Depth=2
	s_and_not1_saveexec_b32 s25, s25
	s_cbranch_execz .LBB17_35
; %bb.31:                               ;   in Loop: Header=BB17_28 Depth=2
	v_lshlrev_b64 v[4:5], 3, v[13:14]
	s_delay_alu instid0(VALU_DEP_1) | instskip(NEXT) | instid1(VALU_DEP_2)
	v_add_co_u32 v15, vcc_lo, s16, v4
	v_add_co_ci_u32_e32 v16, vcc_lo, s17, v5, vcc_lo
	v_lshlrev_b32_e32 v4, 5, v11
	v_add_nc_u32_e32 v11, v18, v11
	s_and_not1_b32 vcc_lo, exec_lo, s1
	global_load_b64 v[34:35], v[15:16], off
	v_add_nc_u32_e32 v9, v17, v4
	ds_load_b128 v[4:7], v9
	s_waitcnt vmcnt(0) lgkmcnt(0)
	v_fma_f32 v4, s2, v34, v4
	v_fma_f32 v5, s29, v34, v5
	s_delay_alu instid0(VALU_DEP_2) | instskip(NEXT) | instid1(VALU_DEP_2)
	v_fma_f32 v4, -s29, v35, v4
	v_fmac_f32_e32 v5, s2, v35
	ds_store_b8 v11, v32
	ds_store_b64 v9, v[4:5]
	s_cbranch_vccnz .LBB17_33
; %bb.32:                               ;   in Loop: Header=BB17_28 Depth=2
	s_clause 0x1
	global_load_b128 v[34:37], v[15:16], off offset:8
	global_load_b64 v[4:5], v[15:16], off offset:24
	ds_load_b128 v[38:41], v9 offset:16
	s_waitcnt vmcnt(1)
	v_fma_f32 v11, s2, v36, v6
	v_fma_f32 v43, s29, v36, v7
	s_waitcnt lgkmcnt(0)
	v_fma_f32 v36, s2, v34, v38
	v_fma_f32 v38, s29, v34, v39
	s_waitcnt vmcnt(0)
	v_fma_f32 v34, s2, v4, v40
	v_fmac_f32_e32 v41, s29, v4
	v_fma_f32 v42, -s29, v37, v11
	v_dual_fmac_f32 v43, s2, v37 :: v_dual_fmac_f32 v38, s2, v35
	v_fma_f32 v37, -s29, v35, v36
	v_fma_f32 v40, -s29, v5, v34
	v_fmac_f32_e32 v41, s2, v5
	ds_store_2addr_b64 v9, v[42:43], v[37:38] offset0:1 offset1:2
	ds_store_b64 v9, v[40:41] offset:24
	s_cbranch_execz .LBB17_34
	s_branch .LBB17_35
.LBB17_33:                              ;   in Loop: Header=BB17_28 Depth=2
.LBB17_34:                              ;   in Loop: Header=BB17_28 Depth=2
	s_clause 0x1
	global_load_b128 v[34:37], v[15:16], off offset:8
	global_load_b64 v[4:5], v[15:16], off offset:24
	ds_load_b128 v[38:41], v9 offset:16
	s_waitcnt vmcnt(1)
	v_fma_f32 v6, s2, v34, v6
	s_waitcnt lgkmcnt(0)
	v_fma_f32 v11, s2, v36, v38
	v_fma_f32 v16, s29, v36, v39
	v_fmac_f32_e32 v7, s29, v34
	s_waitcnt vmcnt(0)
	v_fma_f32 v34, s2, v4, v40
	v_fmac_f32_e32 v41, s29, v4
	v_fma_f32 v6, -s29, v35, v6
	v_dual_fmac_f32 v16, s2, v37 :: v_dual_fmac_f32 v7, s2, v35
	v_fma_f32 v15, -s29, v37, v11
	v_fma_f32 v40, -s29, v5, v34
	v_fmac_f32_e32 v41, s2, v5
	ds_store_2addr_b64 v9, v[6:7], v[15:16] offset0:1 offset1:2
	ds_store_b64 v9, v[40:41] offset:24
.LBB17_35:                              ;   in Loop: Header=BB17_28 Depth=2
	s_or_b32 exec_lo, exec_lo, s25
	s_mov_b32 s25, -1
	s_and_saveexec_b32 s26, s0
	s_cbranch_execz .LBB17_27
; %bb.36:                               ;   in Loop: Header=BB17_28 Depth=2
	v_add_nc_u32_e32 v10, 64, v10
	v_add_nc_u32_e32 v13, 0x100, v13
	s_delay_alu instid0(VALU_DEP_2)
	v_cmp_ge_i32_e32 vcc_lo, v10, v20
	s_or_not1_b32 s25, vcc_lo, exec_lo
	s_branch .LBB17_27
.LBB17_37:                              ;   in Loop: Header=BB17_12 Depth=1
	s_or_b32 exec_lo, exec_lo, s11
.LBB17_38:                              ;   in Loop: Header=BB17_12 Depth=1
	s_delay_alu instid0(SALU_CYCLE_1)
	s_or_b32 exec_lo, exec_lo, s9
	s_waitcnt lgkmcnt(0)
	buffer_gl0_inv
	ds_load_u8 v4, v31
	s_mov_b32 s9, exec_lo
	s_waitcnt lgkmcnt(0)
	v_and_b32_e32 v5, 1, v4
	v_cmp_ne_u16_e32 vcc_lo, 0, v4
	s_delay_alu instid0(VALU_DEP_2)
	v_cmpx_eq_u32_e32 1, v5
	s_cbranch_execz .LBB17_11
; %bb.39:                               ;   in Loop: Header=BB17_12 Depth=1
	ds_load_2addr_b64 v[4:7], v24 offset1:3
	v_and_b32_e32 v9, vcc_lo, v12
	s_waitcnt lgkmcnt(0)
	v_dual_mov_b32 v34, v4 :: v_dual_add_nc_u32 v11, s8, v24
	s_delay_alu instid0(VALU_DEP_2) | instskip(SKIP_1) | instid1(VALU_DEP_2)
	v_bcnt_u32_b32 v9, v9, 0
	v_mov_b32_e32 v35, v5
	v_add3_u32 v15, v21, v9, -1
	v_add_nc_u32_e32 v9, s6, v24
	ds_load_b64 v[36:37], v9
	ds_load_b64 v[4:5], v11
	v_ashrrev_i32_e32 v16, 31, v15
	v_lshlrev_b32_e32 v13, 2, v15
	v_add_nc_u32_e32 v9, v22, v25
	s_delay_alu instid0(VALU_DEP_3) | instskip(NEXT) | instid1(VALU_DEP_3)
	v_lshlrev_b64 v[15:16], 2, v[15:16]
	v_lshlrev_b64 v[38:39], 3, v[13:14]
	s_delay_alu instid0(VALU_DEP_2) | instskip(NEXT) | instid1(VALU_DEP_1)
	v_add_co_u32 v15, s0, s20, v15
	v_add_co_ci_u32_e64 v16, s0, s21, v16, s0
	s_delay_alu instid0(VALU_DEP_3) | instskip(NEXT) | instid1(VALU_DEP_1)
	v_add_co_u32 v38, s0, s22, v38
	v_add_co_ci_u32_e64 v39, s0, s23, v39, s0
	global_store_b32 v[15:16], v9, off
	s_waitcnt lgkmcnt(1)
	global_store_b128 v[38:39], v[34:37], off
	s_waitcnt lgkmcnt(0)
	global_store_b128 v[38:39], v[4:7], off offset:16
	s_branch .LBB17_11
.LBB17_40:
	s_nop 0
	s_sendmsg sendmsg(MSG_DEALLOC_VGPRS)
	s_endpgm
.LBB17_41:
	s_load_b32 s7, s[2:3], 0x0
	v_cndmask_b32_e64 v1, 0, 1, s8
	s_and_not1_b32 vcc_lo, exec_lo, s8
	s_cbranch_vccnz .LBB17_2
.LBB17_42:
	s_load_b32 s3, s[2:3], 0x4
	s_delay_alu instid0(VALU_DEP_1)
	v_cmp_ne_u32_e32 vcc_lo, 1, v1
	s_mov_b32 s2, s28
	s_cbranch_vccnz .LBB17_3
.LBB17_43:
	s_load_b32 s2, s[28:29], 0x0
	v_cmp_ne_u32_e32 vcc_lo, 1, v1
	s_cbranch_vccz .LBB17_4
	s_branch .LBB17_5
	.section	.rodata,"a",@progbits
	.p2align	6, 0x0
	.amdhsa_kernel _ZN9rocsparseL39bsrgeam_wf_per_row_multipass_2_3_kernelILj256ELj2ELj64E21rocsparse_complex_numIfEEEv20rocsparse_direction_iiiNS_24const_host_device_scalarIT2_EEPKiS8_PKS5_S6_S8_S8_SA_S8_PiPS5_21rocsparse_index_base_SD_SD_b
		.amdhsa_group_segment_fixed_size 8448
		.amdhsa_private_segment_fixed_size 0
		.amdhsa_kernarg_size 120
		.amdhsa_user_sgpr_count 15
		.amdhsa_user_sgpr_dispatch_ptr 0
		.amdhsa_user_sgpr_queue_ptr 0
		.amdhsa_user_sgpr_kernarg_segment_ptr 1
		.amdhsa_user_sgpr_dispatch_id 0
		.amdhsa_user_sgpr_private_segment_size 0
		.amdhsa_wavefront_size32 1
		.amdhsa_uses_dynamic_stack 0
		.amdhsa_enable_private_segment 0
		.amdhsa_system_sgpr_workgroup_id_x 1
		.amdhsa_system_sgpr_workgroup_id_y 0
		.amdhsa_system_sgpr_workgroup_id_z 0
		.amdhsa_system_sgpr_workgroup_info 0
		.amdhsa_system_vgpr_workitem_id 0
		.amdhsa_next_free_vgpr 44
		.amdhsa_next_free_sgpr 30
		.amdhsa_reserve_vcc 1
		.amdhsa_float_round_mode_32 0
		.amdhsa_float_round_mode_16_64 0
		.amdhsa_float_denorm_mode_32 3
		.amdhsa_float_denorm_mode_16_64 3
		.amdhsa_dx10_clamp 1
		.amdhsa_ieee_mode 1
		.amdhsa_fp16_overflow 0
		.amdhsa_workgroup_processor_mode 1
		.amdhsa_memory_ordered 1
		.amdhsa_forward_progress 0
		.amdhsa_shared_vgpr_count 0
		.amdhsa_exception_fp_ieee_invalid_op 0
		.amdhsa_exception_fp_denorm_src 0
		.amdhsa_exception_fp_ieee_div_zero 0
		.amdhsa_exception_fp_ieee_overflow 0
		.amdhsa_exception_fp_ieee_underflow 0
		.amdhsa_exception_fp_ieee_inexact 0
		.amdhsa_exception_int_div_zero 0
	.end_amdhsa_kernel
	.section	.text._ZN9rocsparseL39bsrgeam_wf_per_row_multipass_2_3_kernelILj256ELj2ELj64E21rocsparse_complex_numIfEEEv20rocsparse_direction_iiiNS_24const_host_device_scalarIT2_EEPKiS8_PKS5_S6_S8_S8_SA_S8_PiPS5_21rocsparse_index_base_SD_SD_b,"axG",@progbits,_ZN9rocsparseL39bsrgeam_wf_per_row_multipass_2_3_kernelILj256ELj2ELj64E21rocsparse_complex_numIfEEEv20rocsparse_direction_iiiNS_24const_host_device_scalarIT2_EEPKiS8_PKS5_S6_S8_S8_SA_S8_PiPS5_21rocsparse_index_base_SD_SD_b,comdat
.Lfunc_end17:
	.size	_ZN9rocsparseL39bsrgeam_wf_per_row_multipass_2_3_kernelILj256ELj2ELj64E21rocsparse_complex_numIfEEEv20rocsparse_direction_iiiNS_24const_host_device_scalarIT2_EEPKiS8_PKS5_S6_S8_S8_SA_S8_PiPS5_21rocsparse_index_base_SD_SD_b, .Lfunc_end17-_ZN9rocsparseL39bsrgeam_wf_per_row_multipass_2_3_kernelILj256ELj2ELj64E21rocsparse_complex_numIfEEEv20rocsparse_direction_iiiNS_24const_host_device_scalarIT2_EEPKiS8_PKS5_S6_S8_S8_SA_S8_PiPS5_21rocsparse_index_base_SD_SD_b
                                        ; -- End function
	.section	.AMDGPU.csdata,"",@progbits
; Kernel info:
; codeLenInByte = 2280
; NumSgprs: 32
; NumVgprs: 44
; ScratchSize: 0
; MemoryBound: 0
; FloatMode: 240
; IeeeMode: 1
; LDSByteSize: 8448 bytes/workgroup (compile time only)
; SGPRBlocks: 3
; VGPRBlocks: 5
; NumSGPRsForWavesPerEU: 32
; NumVGPRsForWavesPerEU: 44
; Occupancy: 16
; WaveLimiterHint : 1
; COMPUTE_PGM_RSRC2:SCRATCH_EN: 0
; COMPUTE_PGM_RSRC2:USER_SGPR: 15
; COMPUTE_PGM_RSRC2:TRAP_HANDLER: 0
; COMPUTE_PGM_RSRC2:TGID_X_EN: 1
; COMPUTE_PGM_RSRC2:TGID_Y_EN: 0
; COMPUTE_PGM_RSRC2:TGID_Z_EN: 0
; COMPUTE_PGM_RSRC2:TIDIG_COMP_CNT: 0
	.section	.text._ZN9rocsparseL39bsrgeam_wf_per_row_multipass_2_3_kernelILj256ELj3ELj32E21rocsparse_complex_numIfEEEv20rocsparse_direction_iiiNS_24const_host_device_scalarIT2_EEPKiS8_PKS5_S6_S8_S8_SA_S8_PiPS5_21rocsparse_index_base_SD_SD_b,"axG",@progbits,_ZN9rocsparseL39bsrgeam_wf_per_row_multipass_2_3_kernelILj256ELj3ELj32E21rocsparse_complex_numIfEEEv20rocsparse_direction_iiiNS_24const_host_device_scalarIT2_EEPKiS8_PKS5_S6_S8_S8_SA_S8_PiPS5_21rocsparse_index_base_SD_SD_b,comdat
	.globl	_ZN9rocsparseL39bsrgeam_wf_per_row_multipass_2_3_kernelILj256ELj3ELj32E21rocsparse_complex_numIfEEEv20rocsparse_direction_iiiNS_24const_host_device_scalarIT2_EEPKiS8_PKS5_S6_S8_S8_SA_S8_PiPS5_21rocsparse_index_base_SD_SD_b ; -- Begin function _ZN9rocsparseL39bsrgeam_wf_per_row_multipass_2_3_kernelILj256ELj3ELj32E21rocsparse_complex_numIfEEEv20rocsparse_direction_iiiNS_24const_host_device_scalarIT2_EEPKiS8_PKS5_S6_S8_S8_SA_S8_PiPS5_21rocsparse_index_base_SD_SD_b
	.p2align	8
	.type	_ZN9rocsparseL39bsrgeam_wf_per_row_multipass_2_3_kernelILj256ELj3ELj32E21rocsparse_complex_numIfEEEv20rocsparse_direction_iiiNS_24const_host_device_scalarIT2_EEPKiS8_PKS5_S6_S8_S8_SA_S8_PiPS5_21rocsparse_index_base_SD_SD_b,@function
_ZN9rocsparseL39bsrgeam_wf_per_row_multipass_2_3_kernelILj256ELj3ELj32E21rocsparse_complex_numIfEEEv20rocsparse_direction_iiiNS_24const_host_device_scalarIT2_EEPKiS8_PKS5_S6_S8_S8_SA_S8_PiPS5_21rocsparse_index_base_SD_SD_b: ; @_ZN9rocsparseL39bsrgeam_wf_per_row_multipass_2_3_kernelILj256ELj3ELj32E21rocsparse_complex_numIfEEEv20rocsparse_direction_iiiNS_24const_host_device_scalarIT2_EEPKiS8_PKS5_S6_S8_S8_SA_S8_PiPS5_21rocsparse_index_base_SD_SD_b
; %bb.0:
	s_clause 0x2
	s_load_b128 s[4:7], s[0:1], 0x68
	s_load_b64 s[2:3], s[0:1], 0x10
	s_load_b64 s[24:25], s[0:1], 0x30
	s_waitcnt lgkmcnt(0)
	s_bitcmp1_b32 s7, 0
	s_cselect_b32 s7, -1, 0
	s_delay_alu instid0(SALU_CYCLE_1)
	s_xor_b32 s8, s7, -1
	s_and_b32 vcc_lo, exec_lo, s7
	s_mov_b32 s7, s2
	s_cbranch_vccz .LBB18_41
; %bb.1:
	v_cndmask_b32_e64 v1, 0, 1, s8
	s_and_not1_b32 vcc_lo, exec_lo, s8
	s_cbranch_vccz .LBB18_42
.LBB18_2:
	s_delay_alu instid0(VALU_DEP_1)
	v_cmp_ne_u32_e32 vcc_lo, 1, v1
	s_mov_b32 s2, s24
	s_cbranch_vccz .LBB18_43
.LBB18_3:
	v_cmp_ne_u32_e32 vcc_lo, 1, v1
	s_cbranch_vccnz .LBB18_5
.LBB18_4:
	s_load_b32 s25, s[24:25], 0x4
.LBB18_5:
	s_load_b128 s[8:11], s[0:1], 0x0
	v_lshrrev_b32_e32 v7, 5, v0
	s_waitcnt lgkmcnt(0)
	s_lshl_b32 s11, s15, 3
	s_delay_alu instid0(VALU_DEP_1) | instid1(SALU_CYCLE_1)
	v_and_or_b32 v1, 0x7fffff8, s11, v7
	s_delay_alu instid0(VALU_DEP_1)
	v_cmp_gt_i32_e32 vcc_lo, s9, v1
	s_and_saveexec_b32 s9, vcc_lo
	s_cbranch_execz .LBB18_40
; %bb.6:
	s_clause 0x2
	s_load_b128 s[12:15], s[0:1], 0x18
	s_load_b128 s[16:19], s[0:1], 0x38
	s_load_b64 s[20:21], s[0:1], 0x50
	v_lshlrev_b32_e32 v1, 2, v1
	s_waitcnt lgkmcnt(0)
	s_clause 0x2
	global_load_b64 v[5:6], v1, s[12:13]
	global_load_b64 v[3:4], v1, s[16:17]
	global_load_b32 v8, v1, s[20:21]
	s_waitcnt vmcnt(2)
	v_subrev_nc_u32_e32 v1, s4, v5
	v_cmp_lt_i32_e32 vcc_lo, v5, v6
	v_mov_b32_e32 v5, s10
	s_and_saveexec_b32 s9, vcc_lo
	s_cbranch_execz .LBB18_8
; %bb.7:
	v_ashrrev_i32_e32 v2, 31, v1
	s_delay_alu instid0(VALU_DEP_1) | instskip(NEXT) | instid1(VALU_DEP_1)
	v_lshlrev_b64 v[9:10], 2, v[1:2]
	v_add_co_u32 v9, vcc_lo, s14, v9
	s_delay_alu instid0(VALU_DEP_2)
	v_add_co_ci_u32_e32 v10, vcc_lo, s15, v10, vcc_lo
	global_load_b32 v2, v[9:10], off
	s_waitcnt vmcnt(0)
	v_subrev_nc_u32_e32 v5, s4, v2
.LBB18_8:
	s_or_b32 exec_lo, exec_lo, s9
	s_clause 0x2
	s_load_b128 s[20:23], s[0:1], 0x58
	s_load_b64 s[12:13], s[0:1], 0x28
	s_load_b64 s[16:17], s[0:1], 0x48
	s_waitcnt vmcnt(1)
	v_subrev_nc_u32_e32 v2, s5, v3
	v_cmp_lt_i32_e32 vcc_lo, v3, v4
	v_mov_b32_e32 v3, s10
	s_and_saveexec_b32 s0, vcc_lo
	s_cbranch_execz .LBB18_10
; %bb.9:
	v_ashrrev_i32_e32 v3, 31, v2
	s_delay_alu instid0(VALU_DEP_1) | instskip(NEXT) | instid1(VALU_DEP_1)
	v_lshlrev_b64 v[9:10], 2, v[2:3]
	v_add_co_u32 v9, vcc_lo, s18, v9
	s_delay_alu instid0(VALU_DEP_2)
	v_add_co_ci_u32_e32 v10, vcc_lo, s19, v10, vcc_lo
	global_load_b32 v3, v[9:10], off
	s_waitcnt vmcnt(0)
	v_subrev_nc_u32_e32 v3, s5, v3
.LBB18_10:
	s_or_b32 exec_lo, exec_lo, s0
	s_movk_i32 s0, 0xe0
	v_and_b32_e32 v9, 31, v0
	v_and_or_b32 v28, v0, s0, 0x4800
	v_mbcnt_lo_u32_b32 v0, -1, 0
	s_mov_b32 s26, 0
	v_subrev_nc_u32_e32 v27, s4, v6
	s_mov_b32 s27, s26
	v_add_nc_u32_e32 v6, v2, v9
	v_xor_b32_e32 v2, 16, v0
	v_subrev_nc_u32_e32 v30, s5, v4
	v_min_i32_e32 v43, v3, v5
	v_xor_b32_e32 v3, 4, v0
	v_mul_u32_u24_e32 v7, 0x120, v7
	v_cmp_gt_i32_e32 vcc_lo, 32, v2
	v_xor_b32_e32 v5, 2, v0
	s_mov_b32 s28, s26
	s_mov_b32 s29, s26
	v_dual_cndmask_b32 v2, v0, v2 :: v_dual_lshlrev_b32 v29, 3, v7
	v_add_nc_u32_e32 v4, v1, v9
	v_xor_b32_e32 v1, 31, v9
	v_xor_b32_e32 v7, 1, v0
	s_waitcnt vmcnt(0)
	v_subrev_nc_u32_e32 v31, s6, v8
	v_mov_b32_e32 v8, 0
	v_mad_u32_u24 v32, 0x48, v9, v29
	v_lshrrev_b32_e64 v33, v1, -1
	v_xor_b32_e32 v1, 8, v0
	s_cmp_lg_u32 s8, 0
	v_dual_mov_b32 v11, s28 :: v_dual_add_nc_u32 v34, s6, v9
	v_add_nc_u32_e32 v40, v28, v9
	s_delay_alu instid0(VALU_DEP_3)
	v_cmp_gt_i32_e32 vcc_lo, 32, v1
	v_dual_mov_b32 v9, s26 :: v_dual_mov_b32 v10, s27
	s_cselect_b32 s1, -1, 0
	s_cmp_eq_u32 s8, 0
	v_cndmask_b32_e32 v1, v0, v1, vcc_lo
	v_cmp_gt_i32_e32 vcc_lo, 32, v3
	v_mov_b32_e32 v13, v8
	s_cselect_b32 s6, 8, 24
	s_cselect_b32 s8, 16, 48
	v_dual_cndmask_b32 v3, v0, v3 :: v_dual_lshlrev_b32 v36, 2, v1
	v_cmp_gt_i32_e32 vcc_lo, 32, v5
	v_mov_b32_e32 v12, s29
	v_mov_b32_e32 v14, v8
	s_cselect_b32 s9, 24, 8
	v_lshlrev_b32_e32 v35, 2, v2
	v_cndmask_b32_e32 v5, v0, v5, vcc_lo
	v_cmp_gt_i32_e32 vcc_lo, 32, v7
	v_lshlrev_b32_e32 v37, 2, v3
	v_mov_b32_e32 v41, 1
	s_cselect_b32 s11, 40, 56
	v_lshlrev_b32_e32 v38, 2, v5
	v_cndmask_b32_e32 v0, v0, v7, vcc_lo
	s_cselect_b32 s24, 48, 16
	s_cselect_b32 s27, 56, 40
	s_delay_alu instid0(VALU_DEP_1)
	v_lshlrev_b32_e32 v39, 2, v0
	s_branch .LBB18_12
.LBB18_11:                              ;   in Loop: Header=BB18_12 Depth=1
	s_or_b32 exec_lo, exec_lo, s28
	ds_bpermute_b32 v0, v35, v42
	s_bcnt1_i32_b32 s28, vcc_lo
	s_delay_alu instid0(SALU_CYCLE_1)
	v_add_nc_u32_e32 v31, s28, v31
	s_waitcnt lgkmcnt(0)
	v_min_i32_e32 v0, v0, v42
	ds_bpermute_b32 v1, v36, v0
	s_waitcnt lgkmcnt(0)
	v_min_i32_e32 v0, v1, v0
	ds_bpermute_b32 v1, v37, v0
	;; [unrolled: 3-line block ×4, first 2 shown]
	s_waitcnt lgkmcnt(0)
	v_min_i32_e32 v43, v1, v0
	s_delay_alu instid0(VALU_DEP_1) | instskip(NEXT) | instid1(VALU_DEP_1)
	v_cmp_le_i32_e64 s0, s10, v43
	s_or_b32 s26, s0, s26
	s_delay_alu instid0(SALU_CYCLE_1)
	s_and_not1_b32 exec_lo, exec_lo, s26
	s_cbranch_execz .LBB18_40
.LBB18_12:                              ; =>This Loop Header: Depth=1
                                        ;     Child Loop BB18_15 Depth 2
                                        ;     Child Loop BB18_28 Depth 2
	v_mov_b32_e32 v42, s10
	s_mov_b32 s28, exec_lo
	ds_store_2addr_b64 v32, v[9:10], v[11:12] offset1:1
	ds_store_2addr_b64 v32, v[9:10], v[11:12] offset0:2 offset1:3
	ds_store_2addr_b64 v32, v[9:10], v[11:12] offset0:4 offset1:5
	ds_store_2addr_b64 v32, v[9:10], v[11:12] offset0:6 offset1:7
	ds_store_b8 v40, v8
	ds_store_b64 v32, v[13:14] offset:64
	s_waitcnt lgkmcnt(0)
	buffer_gl0_inv
	v_cmpx_lt_i32_e64 v4, v27
	s_cbranch_execz .LBB18_25
; %bb.13:                               ;   in Loop: Header=BB18_12 Depth=1
	v_mad_u64_u32 v[0:1], null, v4, 9, 8
	v_mov_b32_e32 v42, s10
	s_mov_b32 s29, 0
	s_branch .LBB18_15
.LBB18_14:                              ;   in Loop: Header=BB18_15 Depth=2
	s_or_b32 exec_lo, exec_lo, s31
	s_delay_alu instid0(SALU_CYCLE_1) | instskip(NEXT) | instid1(SALU_CYCLE_1)
	s_and_b32 s0, exec_lo, s30
	s_or_b32 s29, s0, s29
	s_delay_alu instid0(SALU_CYCLE_1)
	s_and_not1_b32 exec_lo, exec_lo, s29
	s_cbranch_execz .LBB18_24
.LBB18_15:                              ;   Parent Loop BB18_12 Depth=1
                                        ; =>  This Inner Loop Header: Depth=2
	v_ashrrev_i32_e32 v5, 31, v4
	s_mov_b32 s30, exec_lo
	s_delay_alu instid0(VALU_DEP_1) | instskip(NEXT) | instid1(VALU_DEP_1)
	v_lshlrev_b64 v[1:2], 2, v[4:5]
	v_add_co_u32 v1, vcc_lo, s14, v1
	s_delay_alu instid0(VALU_DEP_2) | instskip(SKIP_3) | instid1(VALU_DEP_1)
	v_add_co_ci_u32_e32 v2, vcc_lo, s15, v2, vcc_lo
	global_load_b32 v1, v[1:2], off
	s_waitcnt vmcnt(0)
	v_subrev_nc_u32_e32 v2, s4, v1
	v_sub_nc_u32_e32 v1, v2, v43
	s_delay_alu instid0(VALU_DEP_1)
	v_cmp_gt_u32_e64 s0, 32, v1
	v_cmpx_lt_u32_e32 31, v1
	s_xor_b32 s30, exec_lo, s30
; %bb.16:                               ;   in Loop: Header=BB18_15 Depth=2
	v_min_i32_e32 v42, v2, v42
                                        ; implicit-def: $vgpr1
; %bb.17:                               ;   in Loop: Header=BB18_15 Depth=2
	s_and_not1_saveexec_b32 s30, s30
	s_cbranch_execz .LBB18_22
; %bb.18:                               ;   in Loop: Header=BB18_15 Depth=2
	v_add_nc_u32_e32 v7, -8, v0
	v_add_nc_u32_e32 v15, -2, v0
	;; [unrolled: 1-line block ×5, first 2 shown]
	v_lshlrev_b64 v[2:3], 3, v[7:8]
	v_add_nc_u32_e32 v7, -5, v0
	s_delay_alu instid0(VALU_DEP_2) | instskip(NEXT) | instid1(VALU_DEP_3)
	v_add_co_u32 v2, vcc_lo, s12, v2
	v_add_co_ci_u32_e32 v3, vcc_lo, s13, v3, vcc_lo
	s_and_not1_b32 vcc_lo, exec_lo, s1
	global_load_b64 v[16:17], v[2:3], off
	v_add_nc_u32_e32 v2, -1, v0
	s_waitcnt vmcnt(0)
	v_mul_f32_e64 v24, v17, -s3
	v_add_nc_u32_e32 v3, v28, v1
	v_mul_lo_u32 v1, 0x48, v1
	v_mul_f32_e32 v25, s7, v17
	v_add_nc_u32_e32 v17, -3, v0
	v_fmac_f32_e32 v24, s7, v16
	s_delay_alu instid0(VALU_DEP_3)
	v_fmac_f32_e32 v25, s3, v16
	v_add_nc_u32_e32 v5, v29, v1
	ds_store_b8 v3, v41
	ds_store_b64 v5, v[24:25]
	s_cbranch_vccnz .LBB18_20
; %bb.19:                               ;   in Loop: Header=BB18_15 Depth=2
	v_mov_b32_e32 v16, v8
	v_lshlrev_b64 v[25:26], 3, v[7:8]
	v_mov_b32_e32 v24, v8
	v_mov_b32_e32 v20, v8
	;; [unrolled: 1-line block ×3, first 2 shown]
	v_lshlrev_b64 v[44:45], 3, v[15:16]
	s_delay_alu instid0(VALU_DEP_4) | instskip(SKIP_2) | instid1(VALU_DEP_4)
	v_lshlrev_b64 v[46:47], 3, v[23:24]
	v_add_co_u32 v24, vcc_lo, s12, v25
	v_add_co_ci_u32_e32 v25, vcc_lo, s13, v26, vcc_lo
	v_add_co_u32 v44, vcc_lo, s12, v44
	v_lshlrev_b64 v[48:49], 3, v[19:20]
	v_add_co_ci_u32_e32 v45, vcc_lo, s13, v45, vcc_lo
	v_add_co_u32 v46, vcc_lo, s12, v46
	v_lshlrev_b64 v[50:51], 3, v[2:3]
	v_add_co_ci_u32_e32 v47, vcc_lo, s13, v47, vcc_lo
	v_add_co_u32 v48, vcc_lo, s12, v48
	v_add_co_ci_u32_e32 v49, vcc_lo, s13, v49, vcc_lo
	s_delay_alu instid0(VALU_DEP_4)
	v_add_co_u32 v50, vcc_lo, s12, v50
	v_add_co_ci_u32_e32 v51, vcc_lo, s13, v51, vcc_lo
	s_clause 0x4
	global_load_b64 v[24:25], v[24:25], off
	global_load_b64 v[44:45], v[44:45], off
	;; [unrolled: 1-line block ×5, first 2 shown]
	v_mov_b32_e32 v22, v8
	v_mov_b32_e32 v18, v8
	s_waitcnt vmcnt(4)
	v_mul_f32_e64 v58, v25, -s3
	v_mul_f32_e32 v59, s7, v25
	s_waitcnt vmcnt(2)
	v_mul_f32_e32 v61, s7, v47
	s_waitcnt vmcnt(1)
	v_mul_f32_e32 v63, s7, v49
	v_lshlrev_b64 v[52:53], 3, v[21:22]
	v_fmac_f32_e32 v58, s7, v24
	v_fmac_f32_e32 v59, s3, v24
	v_mul_f32_e64 v24, v45, -s3
	v_mov_b32_e32 v1, v8
	v_lshlrev_b64 v[54:55], 3, v[17:18]
	v_add_co_u32 v52, vcc_lo, s12, v52
	s_delay_alu instid0(VALU_DEP_4) | instskip(NEXT) | instid1(VALU_DEP_4)
	v_fmac_f32_e32 v24, s7, v44
	v_lshlrev_b64 v[56:57], 3, v[0:1]
	v_add_co_ci_u32_e32 v53, vcc_lo, s13, v53, vcc_lo
	v_add_co_u32 v54, vcc_lo, s12, v54
	v_add_co_ci_u32_e32 v55, vcc_lo, s13, v55, vcc_lo
	s_delay_alu instid0(VALU_DEP_4)
	v_add_co_u32 v56, vcc_lo, s12, v56
	v_add_co_ci_u32_e32 v57, vcc_lo, s13, v57, vcc_lo
	s_clause 0x2
	global_load_b64 v[52:53], v[52:53], off
	global_load_b64 v[54:55], v[54:55], off
	;; [unrolled: 1-line block ×3, first 2 shown]
	v_mul_f32_e32 v25, s7, v45
	v_mul_f32_e64 v60, v47, -s3
	v_mul_f32_e64 v62, v49, -s3
	s_waitcnt vmcnt(3)
	v_mul_f32_e64 v64, v51, -s3
	v_mul_f32_e32 v65, s7, v51
	v_dual_fmac_f32 v63, s3, v48 :: v_dual_fmac_f32 v60, s7, v46
	v_fmac_f32_e32 v62, s7, v48
	s_delay_alu instid0(VALU_DEP_4) | instskip(NEXT) | instid1(VALU_DEP_4)
	v_fmac_f32_e32 v64, s7, v50
	v_fmac_f32_e32 v65, s3, v50
	s_waitcnt vmcnt(2)
	v_mul_f32_e64 v66, v53, -s3
	v_mul_f32_e32 v67, s7, v53
	s_waitcnt vmcnt(1)
	v_mul_f32_e64 v68, v55, -s3
	v_mul_f32_e32 v69, s7, v55
	s_waitcnt vmcnt(0)
	v_mul_f32_e64 v70, v57, -s3
	v_dual_mul_f32 v71, s7, v57 :: v_dual_fmac_f32 v66, s7, v52
	v_dual_fmac_f32 v25, s3, v44 :: v_dual_fmac_f32 v68, s7, v54
	s_delay_alu instid0(VALU_DEP_3)
	v_dual_fmac_f32 v61, s3, v46 :: v_dual_fmac_f32 v70, s7, v56
	v_fmac_f32_e32 v67, s3, v52
	v_fmac_f32_e32 v69, s3, v54
	v_fmac_f32_e32 v71, s3, v56
	ds_store_2addr_b64 v5, v[58:59], v[24:25] offset0:1 offset1:2
	ds_store_2addr_b64 v5, v[60:61], v[62:63] offset0:3 offset1:4
	;; [unrolled: 1-line block ×4, first 2 shown]
	s_cbranch_execz .LBB18_21
	s_branch .LBB18_22
.LBB18_20:                              ;   in Loop: Header=BB18_15 Depth=2
.LBB18_21:                              ;   in Loop: Header=BB18_15 Depth=2
	v_mov_b32_e32 v24, v8
	v_mov_b32_e32 v22, v8
	;; [unrolled: 1-line block ×3, first 2 shown]
	v_lshlrev_b64 v[25:26], 3, v[7:8]
	v_mov_b32_e32 v18, v8
	v_lshlrev_b64 v[23:24], 3, v[23:24]
	v_lshlrev_b64 v[21:22], 3, v[21:22]
	;; [unrolled: 1-line block ×3, first 2 shown]
	s_delay_alu instid0(VALU_DEP_4) | instskip(NEXT) | instid1(VALU_DEP_4)
	v_lshlrev_b64 v[17:18], 3, v[17:18]
	v_add_co_u32 v23, vcc_lo, s12, v23
	v_add_co_ci_u32_e32 v24, vcc_lo, s13, v24, vcc_lo
	v_add_co_u32 v21, vcc_lo, s12, v21
	v_add_co_ci_u32_e32 v22, vcc_lo, s13, v22, vcc_lo
	;; [unrolled: 2-line block ×5, first 2 shown]
	s_clause 0x4
	global_load_b64 v[23:24], v[23:24], off
	global_load_b64 v[21:22], v[21:22], off
	;; [unrolled: 1-line block ×5, first 2 shown]
	v_mov_b32_e32 v16, v8
	s_waitcnt vmcnt(4)
	v_mul_f32_e64 v46, v24, -s3
	v_mov_b32_e32 v3, v8
	s_waitcnt vmcnt(3)
	v_mul_f32_e64 v48, v22, -s3
	v_mov_b32_e32 v1, v8
	s_waitcnt vmcnt(0)
	v_mul_f32_e32 v55, s7, v18
	v_lshlrev_b64 v[15:16], 3, v[15:16]
	v_fmac_f32_e32 v46, s7, v23
	v_fmac_f32_e32 v48, s7, v21
	v_lshlrev_b64 v[2:3], 3, v[2:3]
	v_lshlrev_b64 v[44:45], 3, v[0:1]
	v_mul_f32_e32 v47, s7, v24
	v_add_co_u32 v15, vcc_lo, s12, v15
	v_add_co_ci_u32_e32 v16, vcc_lo, s13, v16, vcc_lo
	v_add_co_u32 v1, vcc_lo, s12, v2
	v_add_co_ci_u32_e32 v2, vcc_lo, s13, v3, vcc_lo
	;; [unrolled: 2-line block ×3, first 2 shown]
	s_clause 0x2
	global_load_b64 v[15:16], v[15:16], off
	global_load_b64 v[1:2], v[1:2], off
	global_load_b64 v[44:45], v[44:45], off
	v_mul_f32_e32 v49, s7, v22
	v_mul_f32_e64 v50, v26, -s3
	v_mul_f32_e32 v51, s7, v26
	v_mul_f32_e64 v52, v20, -s3
	;; [unrolled: 2-line block ×3, first 2 shown]
	v_fmac_f32_e32 v47, s3, v23
	v_fmac_f32_e32 v51, s3, v25
	;; [unrolled: 1-line block ×6, first 2 shown]
	s_waitcnt vmcnt(2)
	v_mul_f32_e64 v56, v16, -s3
	v_mul_f32_e32 v57, s7, v16
	s_waitcnt vmcnt(1)
	v_mul_f32_e64 v58, v2, -s3
	v_mul_f32_e32 v59, s7, v2
	s_waitcnt vmcnt(0)
	v_mul_f32_e64 v2, v45, -s3
	v_dual_mul_f32 v3, s7, v45 :: v_dual_fmac_f32 v56, s7, v15
	v_fmac_f32_e32 v49, s3, v21
	v_dual_fmac_f32 v53, s3, v19 :: v_dual_fmac_f32 v58, s7, v1
	v_fmac_f32_e32 v57, s3, v15
	v_dual_fmac_f32 v59, s3, v1 :: v_dual_fmac_f32 v2, s7, v44
	v_fmac_f32_e32 v3, s3, v44
	ds_store_2addr_b64 v5, v[46:47], v[48:49] offset0:1 offset1:2
	ds_store_2addr_b64 v5, v[50:51], v[52:53] offset0:3 offset1:4
	ds_store_2addr_b64 v5, v[54:55], v[56:57] offset0:5 offset1:6
	ds_store_2addr_b64 v5, v[58:59], v[2:3] offset0:7 offset1:8
.LBB18_22:                              ;   in Loop: Header=BB18_15 Depth=2
	s_or_b32 exec_lo, exec_lo, s30
	s_mov_b32 s30, -1
	s_and_saveexec_b32 s31, s0
	s_cbranch_execz .LBB18_14
; %bb.23:                               ;   in Loop: Header=BB18_15 Depth=2
	v_add_nc_u32_e32 v4, 32, v4
	v_add_nc_u32_e32 v0, 0x120, v0
	s_delay_alu instid0(VALU_DEP_2)
	v_cmp_ge_i32_e32 vcc_lo, v4, v27
	s_or_not1_b32 s30, vcc_lo, exec_lo
	s_branch .LBB18_14
.LBB18_24:                              ;   in Loop: Header=BB18_12 Depth=1
	s_or_b32 exec_lo, exec_lo, s29
.LBB18_25:                              ;   in Loop: Header=BB18_12 Depth=1
	s_delay_alu instid0(SALU_CYCLE_1) | instskip(NEXT) | instid1(SALU_CYCLE_1)
	s_or_b32 exec_lo, exec_lo, s28
	s_mov_b32 s28, exec_lo
	s_waitcnt lgkmcnt(0)
	buffer_gl0_inv
	v_cmpx_lt_i32_e64 v6, v30
	s_cbranch_execz .LBB18_38
; %bb.26:                               ;   in Loop: Header=BB18_12 Depth=1
	v_mad_u64_u32 v[15:16], null, v6, 9, 8
	s_mov_b32 s29, 0
	s_branch .LBB18_28
.LBB18_27:                              ;   in Loop: Header=BB18_28 Depth=2
	s_or_b32 exec_lo, exec_lo, s31
	s_delay_alu instid0(SALU_CYCLE_1) | instskip(NEXT) | instid1(SALU_CYCLE_1)
	s_and_b32 s0, exec_lo, s30
	s_or_b32 s29, s0, s29
	s_delay_alu instid0(SALU_CYCLE_1)
	s_and_not1_b32 exec_lo, exec_lo, s29
	s_cbranch_execz .LBB18_37
.LBB18_28:                              ;   Parent Loop BB18_12 Depth=1
                                        ; =>  This Inner Loop Header: Depth=2
	v_ashrrev_i32_e32 v7, 31, v6
	s_mov_b32 s30, exec_lo
	s_delay_alu instid0(VALU_DEP_1) | instskip(NEXT) | instid1(VALU_DEP_1)
	v_lshlrev_b64 v[0:1], 2, v[6:7]
	v_add_co_u32 v0, vcc_lo, s18, v0
	s_delay_alu instid0(VALU_DEP_2) | instskip(SKIP_3) | instid1(VALU_DEP_1)
	v_add_co_ci_u32_e32 v1, vcc_lo, s19, v1, vcc_lo
	global_load_b32 v0, v[0:1], off
	s_waitcnt vmcnt(0)
	v_subrev_nc_u32_e32 v0, s5, v0
	v_sub_nc_u32_e32 v16, v0, v43
	s_delay_alu instid0(VALU_DEP_1)
	v_cmp_gt_u32_e64 s0, 32, v16
	v_cmpx_lt_u32_e32 31, v16
	s_xor_b32 s30, exec_lo, s30
; %bb.29:                               ;   in Loop: Header=BB18_28 Depth=2
	v_min_i32_e32 v42, v0, v42
                                        ; implicit-def: $vgpr16
; %bb.30:                               ;   in Loop: Header=BB18_28 Depth=2
	s_and_not1_saveexec_b32 s30, s30
	s_cbranch_execz .LBB18_35
; %bb.31:                               ;   in Loop: Header=BB18_28 Depth=2
	v_add_nc_u32_e32 v7, -8, v15
	v_add_nc_u32_e32 v17, -2, v15
	;; [unrolled: 1-line block ×5, first 2 shown]
	v_lshlrev_b64 v[0:1], 3, v[7:8]
	v_add_nc_u32_e32 v7, -5, v15
	s_delay_alu instid0(VALU_DEP_2) | instskip(NEXT) | instid1(VALU_DEP_3)
	v_add_co_u32 v0, vcc_lo, s16, v0
	v_add_co_ci_u32_e32 v1, vcc_lo, s17, v1, vcc_lo
	s_and_not1_b32 vcc_lo, exec_lo, s1
	global_load_b64 v[18:19], v[0:1], off
	v_mul_lo_u32 v0, 0x48, v16
	s_delay_alu instid0(VALU_DEP_1)
	v_add_nc_u32_e32 v5, v29, v0
	ds_load_2addr_b64 v[0:3], v5 offset1:1
	s_waitcnt vmcnt(0) lgkmcnt(0)
	v_fma_f32 v20, s2, v18, v0
	v_fma_f32 v45, s25, v18, v1
	v_add_nc_u32_e32 v16, v28, v16
	v_add_nc_u32_e32 v0, -1, v15
	s_delay_alu instid0(VALU_DEP_4) | instskip(NEXT) | instid1(VALU_DEP_4)
	v_fma_f32 v44, -s25, v19, v20
	v_fmac_f32_e32 v45, s2, v19
	v_add_nc_u32_e32 v19, -3, v15
	ds_store_b8 v16, v41
	ds_store_b64 v5, v[44:45]
	s_cbranch_vccnz .LBB18_33
; %bb.32:                               ;   in Loop: Header=BB18_28 Depth=2
	v_mov_b32_e32 v18, v8
	v_lshlrev_b64 v[44:45], 3, v[7:8]
	v_mov_b32_e32 v26, v8
	v_mov_b32_e32 v22, v8
	v_mov_b32_e32 v1, v8
	v_lshlrev_b64 v[46:47], 3, v[17:18]
	v_mov_b32_e32 v24, v8
	v_lshlrev_b64 v[48:49], 3, v[25:26]
	v_add_co_u32 v44, vcc_lo, s16, v44
	v_add_co_ci_u32_e32 v45, vcc_lo, s17, v45, vcc_lo
	v_add_co_u32 v46, vcc_lo, s16, v46
	v_lshlrev_b64 v[50:51], 3, v[21:22]
	v_add_co_ci_u32_e32 v47, vcc_lo, s17, v47, vcc_lo
	v_add_co_u32 v48, vcc_lo, s16, v48
	v_lshlrev_b64 v[52:53], 3, v[0:1]
	v_add_co_ci_u32_e32 v49, vcc_lo, s17, v49, vcc_lo
	v_add_co_u32 v50, vcc_lo, s16, v50
	v_add_co_ci_u32_e32 v51, vcc_lo, s17, v51, vcc_lo
	s_delay_alu instid0(VALU_DEP_4)
	v_add_co_u32 v52, vcc_lo, s16, v52
	v_mov_b32_e32 v20, v8
	v_add_co_ci_u32_e32 v53, vcc_lo, s17, v53, vcc_lo
	v_lshlrev_b64 v[54:55], 3, v[23:24]
	s_clause 0x4
	global_load_b64 v[56:57], v[44:45], off
	global_load_b64 v[58:59], v[46:47], off
	;; [unrolled: 1-line block ×5, first 2 shown]
	v_mov_b32_e32 v16, v8
	v_lshlrev_b64 v[44:45], 3, v[19:20]
	v_add_co_u32 v46, vcc_lo, s16, v54
	s_delay_alu instid0(VALU_DEP_3) | instskip(SKIP_1) | instid1(VALU_DEP_4)
	v_lshlrev_b64 v[48:49], 3, v[15:16]
	v_add_co_ci_u32_e32 v47, vcc_lo, s17, v55, vcc_lo
	v_add_co_u32 v44, vcc_lo, s16, v44
	v_add_co_ci_u32_e32 v45, vcc_lo, s17, v45, vcc_lo
	s_delay_alu instid0(VALU_DEP_4)
	v_add_co_u32 v48, vcc_lo, s16, v48
	v_add_co_ci_u32_e32 v49, vcc_lo, s17, v49, vcc_lo
	s_clause 0x2
	global_load_b64 v[66:67], v[46:47], off
	global_load_b64 v[68:69], v[44:45], off
	;; [unrolled: 1-line block ×3, first 2 shown]
	ds_load_2addr_b64 v[44:47], v5 offset0:2 offset1:3
	ds_load_2addr_b64 v[48:51], v5 offset0:4 offset1:5
	ds_load_2addr_b64 v[52:55], v5 offset0:6 offset1:7
	ds_load_b64 v[72:73], v5 offset:64
	s_waitcnt vmcnt(7)
	v_fma_f32 v1, s2, v56, v2
	v_fma_f32 v75, s25, v56, v3
	s_waitcnt vmcnt(6) lgkmcnt(3)
	v_fma_f32 v45, s25, v58, v45
	s_waitcnt vmcnt(5)
	v_fma_f32 v16, s2, v60, v46
	v_fmac_f32_e32 v47, s25, v60
	v_fma_f32 v74, -s25, v57, v1
	v_fma_f32 v1, s2, v58, v44
	v_fmac_f32_e32 v45, s2, v59
	s_waitcnt vmcnt(4) lgkmcnt(2)
	v_fma_f32 v18, s2, v62, v48
	v_fma_f32 v49, s25, v62, v49
	s_waitcnt vmcnt(3)
	v_fma_f32 v20, s2, v64, v50
	v_fmac_f32_e32 v51, s25, v64
	v_fmac_f32_e32 v75, s2, v57
	v_fma_f32 v44, -s25, v59, v1
	v_fma_f32 v46, -s25, v61, v16
	v_fmac_f32_e32 v47, s2, v61
	v_fma_f32 v48, -s25, v63, v18
	v_fmac_f32_e32 v49, s2, v63
	;; [unrolled: 2-line block ×3, first 2 shown]
	s_waitcnt vmcnt(2) lgkmcnt(1)
	v_fma_f32 v22, s2, v66, v52
	v_fma_f32 v53, s25, v66, v53
	s_waitcnt vmcnt(1)
	v_fma_f32 v24, s2, v68, v54
	v_fmac_f32_e32 v55, s25, v68
	s_waitcnt vmcnt(0) lgkmcnt(0)
	v_fma_f32 v26, s2, v70, v72
	v_fmac_f32_e32 v73, s25, v70
	v_fma_f32 v52, -s25, v67, v22
	v_fmac_f32_e32 v53, s2, v67
	v_fma_f32 v54, -s25, v69, v24
	;; [unrolled: 2-line block ×3, first 2 shown]
	v_fmac_f32_e32 v73, s2, v71
	ds_store_2addr_b64 v5, v[74:75], v[44:45] offset0:1 offset1:2
	ds_store_2addr_b64 v5, v[46:47], v[48:49] offset0:3 offset1:4
	;; [unrolled: 1-line block ×4, first 2 shown]
	s_cbranch_execz .LBB18_34
	s_branch .LBB18_35
.LBB18_33:                              ;   in Loop: Header=BB18_28 Depth=2
.LBB18_34:                              ;   in Loop: Header=BB18_28 Depth=2
	v_mov_b32_e32 v26, v8
	v_mov_b32_e32 v24, v8
	;; [unrolled: 1-line block ×3, first 2 shown]
	v_lshlrev_b64 v[44:45], 3, v[7:8]
	v_mov_b32_e32 v20, v8
	v_lshlrev_b64 v[25:26], 3, v[25:26]
	v_lshlrev_b64 v[23:24], 3, v[23:24]
	;; [unrolled: 1-line block ×3, first 2 shown]
	v_mov_b32_e32 v18, v8
	v_lshlrev_b64 v[19:20], 3, v[19:20]
	v_mov_b32_e32 v1, v8
	v_add_co_u32 v25, vcc_lo, s16, v25
	v_add_co_ci_u32_e32 v26, vcc_lo, s17, v26, vcc_lo
	v_add_co_u32 v23, vcc_lo, s16, v23
	v_add_co_ci_u32_e32 v24, vcc_lo, s17, v24, vcc_lo
	;; [unrolled: 2-line block ×5, first 2 shown]
	s_clause 0x4
	global_load_b64 v[25:26], v[25:26], off
	global_load_b64 v[48:49], v[23:24], off
	;; [unrolled: 1-line block ×5, first 2 shown]
	v_lshlrev_b64 v[17:18], 3, v[17:18]
	v_lshlrev_b64 v[0:1], 3, v[0:1]
	s_delay_alu instid0(VALU_DEP_2) | instskip(NEXT) | instid1(VALU_DEP_3)
	v_add_co_u32 v17, vcc_lo, s16, v17
	v_add_co_ci_u32_e32 v18, vcc_lo, s17, v18, vcc_lo
	s_delay_alu instid0(VALU_DEP_3) | instskip(NEXT) | instid1(VALU_DEP_4)
	v_add_co_u32 v0, vcc_lo, s16, v0
	v_add_co_ci_u32_e32 v1, vcc_lo, s17, v1, vcc_lo
	s_waitcnt vmcnt(4)
	v_dual_fmac_f32 v3, s25, v25 :: v_dual_mov_b32 v16, v8
	v_fma_f32 v2, s2, v25, v2
	s_delay_alu instid0(VALU_DEP_2) | instskip(NEXT) | instid1(VALU_DEP_3)
	v_fmac_f32_e32 v3, s2, v26
	v_lshlrev_b64 v[19:20], 3, v[15:16]
	s_delay_alu instid0(VALU_DEP_1) | instskip(NEXT) | instid1(VALU_DEP_2)
	v_add_co_u32 v19, vcc_lo, s16, v19
	v_add_co_ci_u32_e32 v20, vcc_lo, s17, v20, vcc_lo
	s_clause 0x2
	global_load_b64 v[56:57], v[17:18], off
	global_load_b64 v[0:1], v[0:1], off
	;; [unrolled: 1-line block ×3, first 2 shown]
	ds_load_2addr_b64 v[16:19], v5 offset0:2 offset1:3
	ds_load_2addr_b64 v[20:23], v5 offset0:4 offset1:5
	;; [unrolled: 1-line block ×3, first 2 shown]
	ds_load_b64 v[60:61], v5 offset:64
	s_waitcnt vmcnt(5) lgkmcnt(3)
	v_fmac_f32_e32 v19, s25, v50
	s_waitcnt vmcnt(3) lgkmcnt(2)
	v_fmac_f32_e32 v23, s25, v54
	v_fma_f32 v7, s2, v48, v16
	v_fma_f32 v17, s25, v48, v17
	;; [unrolled: 1-line block ×6, first 2 shown]
	v_fmac_f32_e32 v19, s2, v51
	v_fmac_f32_e32 v23, s2, v55
	v_fma_f32 v16, -s25, v49, v7
	v_fmac_f32_e32 v17, s2, v49
	v_fma_f32 v20, -s25, v53, v20
	v_fmac_f32_e32 v21, s2, v53
	s_waitcnt vmcnt(2) lgkmcnt(1)
	v_fma_f32 v24, s2, v56, v44
	s_waitcnt vmcnt(1)
	v_fmac_f32_e32 v47, s25, v0
	v_fma_f32 v44, s2, v0, v46
	v_fma_f32 v25, s25, v56, v45
	s_waitcnt vmcnt(0) lgkmcnt(0)
	v_fma_f32 v45, s2, v58, v60
	v_fmac_f32_e32 v61, s25, v58
	v_fmac_f32_e32 v47, s2, v1
	v_fma_f32 v0, -s25, v26, v2
	v_fma_f32 v2, -s25, v51, v18
	;; [unrolled: 1-line block ×4, first 2 shown]
	v_mov_b32_e32 v1, v3
	v_mov_b32_e32 v3, v19
	v_fma_f32 v24, -s25, v57, v24
	v_fmac_f32_e32 v25, s2, v57
	v_mov_b32_e32 v19, v23
	v_fma_f32 v60, -s25, v59, v45
	v_fmac_f32_e32 v61, s2, v59
	v_mov_b32_e32 v23, v47
	ds_store_2addr_b64 v5, v[0:1], v[16:17] offset0:1 offset1:2
	ds_store_2addr_b64 v5, v[2:3], v[20:21] offset0:3 offset1:4
	;; [unrolled: 1-line block ×4, first 2 shown]
.LBB18_35:                              ;   in Loop: Header=BB18_28 Depth=2
	s_or_b32 exec_lo, exec_lo, s30
	s_mov_b32 s30, -1
	s_and_saveexec_b32 s31, s0
	s_cbranch_execz .LBB18_27
; %bb.36:                               ;   in Loop: Header=BB18_28 Depth=2
	v_add_nc_u32_e32 v6, 32, v6
	v_add_nc_u32_e32 v15, 0x120, v15
	s_delay_alu instid0(VALU_DEP_2)
	v_cmp_ge_i32_e32 vcc_lo, v6, v30
	s_or_not1_b32 s30, vcc_lo, exec_lo
	s_branch .LBB18_27
.LBB18_37:                              ;   in Loop: Header=BB18_12 Depth=1
	s_or_b32 exec_lo, exec_lo, s29
.LBB18_38:                              ;   in Loop: Header=BB18_12 Depth=1
	s_delay_alu instid0(SALU_CYCLE_1)
	s_or_b32 exec_lo, exec_lo, s28
	s_waitcnt lgkmcnt(0)
	buffer_gl0_inv
	ds_load_u8 v0, v40
	s_mov_b32 s28, exec_lo
	s_waitcnt lgkmcnt(0)
	v_and_b32_e32 v1, 1, v0
	v_cmp_ne_u16_e32 vcc_lo, 0, v0
	s_delay_alu instid0(VALU_DEP_2)
	v_cmpx_eq_u32_e32 1, v1
	s_cbranch_execz .LBB18_11
; %bb.39:                               ;   in Loop: Header=BB18_12 Depth=1
	v_dual_mov_b32 v17, v8 :: v_dual_and_b32 v0, vcc_lo, v33
	v_add_nc_u32_e32 v5, v34, v43
	v_add_nc_u32_e32 v26, s9, v32
	;; [unrolled: 1-line block ×3, first 2 shown]
	s_delay_alu instid0(VALU_DEP_4) | instskip(SKIP_3) | instid1(VALU_DEP_4)
	v_bcnt_u32_b32 v0, v0, 0
	v_add_nc_u32_e32 v57, s24, v32
	v_dual_mov_b32 v44, v8 :: v_dual_add_nc_u32 v59, s27, v32
	v_mov_b32_e32 v46, v8
	v_add3_u32 v15, v31, v0, -1
	ds_load_2addr_b64 v[0:3], v32 offset1:4
	v_mov_b32_e32 v48, v8
	v_ashrrev_i32_e32 v16, 31, v15
	v_lshl_add_u32 v7, v15, 3, v15
	v_mov_b32_e32 v19, v8
	v_mov_b32_e32 v21, v8
	s_delay_alu instid0(VALU_DEP_4) | instskip(NEXT) | instid1(VALU_DEP_4)
	v_lshlrev_b64 v[22:23], 2, v[15:16]
	v_add_nc_u32_e32 v18, 2, v7
	v_add_nc_u32_e32 v16, 1, v7
	v_lshlrev_b64 v[24:25], 3, v[7:8]
	v_add_nc_u32_e32 v20, 3, v7
	v_add_nc_u32_e32 v15, 4, v7
	v_add_co_u32 v22, s0, s20, v22
	v_lshlrev_b64 v[16:17], 3, v[16:17]
	v_add_co_ci_u32_e64 v23, s0, s21, v23, s0
	v_lshlrev_b64 v[18:19], 3, v[18:19]
	v_add_co_u32 v24, s0, s22, v24
	s_delay_alu instid0(VALU_DEP_1) | instskip(SKIP_3) | instid1(VALU_DEP_1)
	v_add_co_ci_u32_e64 v25, s0, s23, v25, s0
	v_lshlrev_b64 v[20:21], 3, v[20:21]
	global_store_b32 v[22:23], v5, off
	v_add_co_u32 v22, s0, s22, v16
	v_add_co_ci_u32_e64 v23, s0, s23, v17, s0
	v_add_co_u32 v17, s0, s22, v18
	s_delay_alu instid0(VALU_DEP_1)
	v_add_co_ci_u32_e64 v18, s0, s23, v19, s0
	v_add_co_u32 v19, s0, s22, v20
	v_dual_mov_b32 v16, v8 :: v_dual_add_nc_u32 v5, s6, v32
	v_add_co_ci_u32_e64 v20, s0, s23, v21, s0
	v_add_nc_u32_e32 v21, s8, v32
	v_add_nc_u32_e32 v43, 5, v7
	s_delay_alu instid0(VALU_DEP_4)
	v_lshlrev_b64 v[15:16], 3, v[15:16]
	ds_load_b64 v[49:50], v5
	ds_load_b64 v[51:52], v21
	;; [unrolled: 1-line block ×6, first 2 shown]
	ds_load_b64 v[61:62], v32 offset:64
	v_add_nc_u32_e32 v45, 6, v7
	v_lshlrev_b64 v[43:44], 3, v[43:44]
	v_add_nc_u32_e32 v47, 7, v7
	v_add_co_u32 v15, s0, s22, v15
	s_delay_alu instid0(VALU_DEP_4)
	v_lshlrev_b64 v[45:46], 3, v[45:46]
	v_add_nc_u32_e32 v7, 8, v7
	v_add_co_ci_u32_e64 v16, s0, s23, v16, s0
	v_add_co_u32 v43, s0, s22, v43
	v_lshlrev_b64 v[47:48], 3, v[47:48]
	v_add_co_ci_u32_e64 v44, s0, s23, v44, s0
	v_add_co_u32 v45, s0, s22, v45
	v_lshlrev_b64 v[63:64], 3, v[7:8]
	v_add_co_ci_u32_e64 v46, s0, s23, v46, s0
	v_add_co_u32 v47, s0, s22, v47
	s_delay_alu instid0(VALU_DEP_1) | instskip(NEXT) | instid1(VALU_DEP_4)
	v_add_co_ci_u32_e64 v48, s0, s23, v48, s0
	v_add_co_u32 v63, s0, s22, v63
	s_delay_alu instid0(VALU_DEP_1)
	v_add_co_ci_u32_e64 v64, s0, s23, v64, s0
	s_waitcnt lgkmcnt(7)
	global_store_b64 v[24:25], v[0:1], off
	s_waitcnt lgkmcnt(6)
	global_store_b64 v[22:23], v[49:50], off
	;; [unrolled: 2-line block ×3, first 2 shown]
	s_waitcnt lgkmcnt(4)
	s_clause 0x1
	global_store_b64 v[19:20], v[53:54], off
	global_store_b64 v[15:16], v[2:3], off
	s_waitcnt lgkmcnt(3)
	global_store_b64 v[43:44], v[55:56], off
	s_waitcnt lgkmcnt(2)
	;; [unrolled: 2-line block ×4, first 2 shown]
	global_store_b64 v[63:64], v[61:62], off
	s_branch .LBB18_11
.LBB18_40:
	s_nop 0
	s_sendmsg sendmsg(MSG_DEALLOC_VGPRS)
	s_endpgm
.LBB18_41:
	s_load_b32 s7, s[2:3], 0x0
	v_cndmask_b32_e64 v1, 0, 1, s8
	s_and_not1_b32 vcc_lo, exec_lo, s8
	s_cbranch_vccnz .LBB18_2
.LBB18_42:
	s_load_b32 s3, s[2:3], 0x4
	s_delay_alu instid0(VALU_DEP_1)
	v_cmp_ne_u32_e32 vcc_lo, 1, v1
	s_mov_b32 s2, s24
	s_cbranch_vccnz .LBB18_3
.LBB18_43:
	s_load_b32 s2, s[24:25], 0x0
	v_cmp_ne_u32_e32 vcc_lo, 1, v1
	s_cbranch_vccz .LBB18_4
	s_branch .LBB18_5
	.section	.rodata,"a",@progbits
	.p2align	6, 0x0
	.amdhsa_kernel _ZN9rocsparseL39bsrgeam_wf_per_row_multipass_2_3_kernelILj256ELj3ELj32E21rocsparse_complex_numIfEEEv20rocsparse_direction_iiiNS_24const_host_device_scalarIT2_EEPKiS8_PKS5_S6_S8_S8_SA_S8_PiPS5_21rocsparse_index_base_SD_SD_b
		.amdhsa_group_segment_fixed_size 18688
		.amdhsa_private_segment_fixed_size 0
		.amdhsa_kernarg_size 120
		.amdhsa_user_sgpr_count 15
		.amdhsa_user_sgpr_dispatch_ptr 0
		.amdhsa_user_sgpr_queue_ptr 0
		.amdhsa_user_sgpr_kernarg_segment_ptr 1
		.amdhsa_user_sgpr_dispatch_id 0
		.amdhsa_user_sgpr_private_segment_size 0
		.amdhsa_wavefront_size32 1
		.amdhsa_uses_dynamic_stack 0
		.amdhsa_enable_private_segment 0
		.amdhsa_system_sgpr_workgroup_id_x 1
		.amdhsa_system_sgpr_workgroup_id_y 0
		.amdhsa_system_sgpr_workgroup_id_z 0
		.amdhsa_system_sgpr_workgroup_info 0
		.amdhsa_system_vgpr_workitem_id 0
		.amdhsa_next_free_vgpr 76
		.amdhsa_next_free_sgpr 32
		.amdhsa_reserve_vcc 1
		.amdhsa_float_round_mode_32 0
		.amdhsa_float_round_mode_16_64 0
		.amdhsa_float_denorm_mode_32 3
		.amdhsa_float_denorm_mode_16_64 3
		.amdhsa_dx10_clamp 1
		.amdhsa_ieee_mode 1
		.amdhsa_fp16_overflow 0
		.amdhsa_workgroup_processor_mode 1
		.amdhsa_memory_ordered 1
		.amdhsa_forward_progress 0
		.amdhsa_shared_vgpr_count 0
		.amdhsa_exception_fp_ieee_invalid_op 0
		.amdhsa_exception_fp_denorm_src 0
		.amdhsa_exception_fp_ieee_div_zero 0
		.amdhsa_exception_fp_ieee_overflow 0
		.amdhsa_exception_fp_ieee_underflow 0
		.amdhsa_exception_fp_ieee_inexact 0
		.amdhsa_exception_int_div_zero 0
	.end_amdhsa_kernel
	.section	.text._ZN9rocsparseL39bsrgeam_wf_per_row_multipass_2_3_kernelILj256ELj3ELj32E21rocsparse_complex_numIfEEEv20rocsparse_direction_iiiNS_24const_host_device_scalarIT2_EEPKiS8_PKS5_S6_S8_S8_SA_S8_PiPS5_21rocsparse_index_base_SD_SD_b,"axG",@progbits,_ZN9rocsparseL39bsrgeam_wf_per_row_multipass_2_3_kernelILj256ELj3ELj32E21rocsparse_complex_numIfEEEv20rocsparse_direction_iiiNS_24const_host_device_scalarIT2_EEPKiS8_PKS5_S6_S8_S8_SA_S8_PiPS5_21rocsparse_index_base_SD_SD_b,comdat
.Lfunc_end18:
	.size	_ZN9rocsparseL39bsrgeam_wf_per_row_multipass_2_3_kernelILj256ELj3ELj32E21rocsparse_complex_numIfEEEv20rocsparse_direction_iiiNS_24const_host_device_scalarIT2_EEPKiS8_PKS5_S6_S8_S8_SA_S8_PiPS5_21rocsparse_index_base_SD_SD_b, .Lfunc_end18-_ZN9rocsparseL39bsrgeam_wf_per_row_multipass_2_3_kernelILj256ELj3ELj32E21rocsparse_complex_numIfEEEv20rocsparse_direction_iiiNS_24const_host_device_scalarIT2_EEPKiS8_PKS5_S6_S8_S8_SA_S8_PiPS5_21rocsparse_index_base_SD_SD_b
                                        ; -- End function
	.section	.AMDGPU.csdata,"",@progbits
; Kernel info:
; codeLenInByte = 4448
; NumSgprs: 34
; NumVgprs: 76
; ScratchSize: 0
; MemoryBound: 0
; FloatMode: 240
; IeeeMode: 1
; LDSByteSize: 18688 bytes/workgroup (compile time only)
; SGPRBlocks: 4
; VGPRBlocks: 9
; NumSGPRsForWavesPerEU: 34
; NumVGPRsForWavesPerEU: 76
; Occupancy: 14
; WaveLimiterHint : 1
; COMPUTE_PGM_RSRC2:SCRATCH_EN: 0
; COMPUTE_PGM_RSRC2:USER_SGPR: 15
; COMPUTE_PGM_RSRC2:TRAP_HANDLER: 0
; COMPUTE_PGM_RSRC2:TGID_X_EN: 1
; COMPUTE_PGM_RSRC2:TGID_Y_EN: 0
; COMPUTE_PGM_RSRC2:TGID_Z_EN: 0
; COMPUTE_PGM_RSRC2:TIDIG_COMP_CNT: 0
	.section	.text._ZN9rocsparseL39bsrgeam_wf_per_row_multipass_2_3_kernelILj256ELj3ELj64E21rocsparse_complex_numIfEEEv20rocsparse_direction_iiiNS_24const_host_device_scalarIT2_EEPKiS8_PKS5_S6_S8_S8_SA_S8_PiPS5_21rocsparse_index_base_SD_SD_b,"axG",@progbits,_ZN9rocsparseL39bsrgeam_wf_per_row_multipass_2_3_kernelILj256ELj3ELj64E21rocsparse_complex_numIfEEEv20rocsparse_direction_iiiNS_24const_host_device_scalarIT2_EEPKiS8_PKS5_S6_S8_S8_SA_S8_PiPS5_21rocsparse_index_base_SD_SD_b,comdat
	.globl	_ZN9rocsparseL39bsrgeam_wf_per_row_multipass_2_3_kernelILj256ELj3ELj64E21rocsparse_complex_numIfEEEv20rocsparse_direction_iiiNS_24const_host_device_scalarIT2_EEPKiS8_PKS5_S6_S8_S8_SA_S8_PiPS5_21rocsparse_index_base_SD_SD_b ; -- Begin function _ZN9rocsparseL39bsrgeam_wf_per_row_multipass_2_3_kernelILj256ELj3ELj64E21rocsparse_complex_numIfEEEv20rocsparse_direction_iiiNS_24const_host_device_scalarIT2_EEPKiS8_PKS5_S6_S8_S8_SA_S8_PiPS5_21rocsparse_index_base_SD_SD_b
	.p2align	8
	.type	_ZN9rocsparseL39bsrgeam_wf_per_row_multipass_2_3_kernelILj256ELj3ELj64E21rocsparse_complex_numIfEEEv20rocsparse_direction_iiiNS_24const_host_device_scalarIT2_EEPKiS8_PKS5_S6_S8_S8_SA_S8_PiPS5_21rocsparse_index_base_SD_SD_b,@function
_ZN9rocsparseL39bsrgeam_wf_per_row_multipass_2_3_kernelILj256ELj3ELj64E21rocsparse_complex_numIfEEEv20rocsparse_direction_iiiNS_24const_host_device_scalarIT2_EEPKiS8_PKS5_S6_S8_S8_SA_S8_PiPS5_21rocsparse_index_base_SD_SD_b: ; @_ZN9rocsparseL39bsrgeam_wf_per_row_multipass_2_3_kernelILj256ELj3ELj64E21rocsparse_complex_numIfEEEv20rocsparse_direction_iiiNS_24const_host_device_scalarIT2_EEPKiS8_PKS5_S6_S8_S8_SA_S8_PiPS5_21rocsparse_index_base_SD_SD_b
; %bb.0:
	s_clause 0x2
	s_load_b128 s[4:7], s[0:1], 0x68
	s_load_b64 s[2:3], s[0:1], 0x10
	s_load_b64 s[24:25], s[0:1], 0x30
	s_waitcnt lgkmcnt(0)
	s_bitcmp1_b32 s7, 0
	s_cselect_b32 s7, -1, 0
	s_delay_alu instid0(SALU_CYCLE_1)
	s_xor_b32 s8, s7, -1
	s_and_b32 vcc_lo, exec_lo, s7
	s_mov_b32 s7, s2
	s_cbranch_vccz .LBB19_41
; %bb.1:
	v_cndmask_b32_e64 v1, 0, 1, s8
	s_and_not1_b32 vcc_lo, exec_lo, s8
	s_cbranch_vccz .LBB19_42
.LBB19_2:
	s_delay_alu instid0(VALU_DEP_1)
	v_cmp_ne_u32_e32 vcc_lo, 1, v1
	s_mov_b32 s2, s24
	s_cbranch_vccz .LBB19_43
.LBB19_3:
	v_cmp_ne_u32_e32 vcc_lo, 1, v1
	s_cbranch_vccnz .LBB19_5
.LBB19_4:
	s_load_b32 s25, s[24:25], 0x4
.LBB19_5:
	s_load_b128 s[8:11], s[0:1], 0x0
	v_lshrrev_b32_e32 v7, 6, v0
	s_waitcnt lgkmcnt(0)
	s_lshl_b32 s11, s15, 2
	s_delay_alu instid0(VALU_DEP_1) | instid1(SALU_CYCLE_1)
	v_and_or_b32 v1, 0x3fffffc, s11, v7
	s_delay_alu instid0(VALU_DEP_1)
	v_cmp_gt_i32_e32 vcc_lo, s9, v1
	s_and_saveexec_b32 s9, vcc_lo
	s_cbranch_execz .LBB19_40
; %bb.6:
	s_clause 0x2
	s_load_b128 s[12:15], s[0:1], 0x18
	s_load_b128 s[16:19], s[0:1], 0x38
	s_load_b64 s[20:21], s[0:1], 0x50
	v_lshlrev_b32_e32 v1, 2, v1
	s_waitcnt lgkmcnt(0)
	s_clause 0x2
	global_load_b64 v[5:6], v1, s[12:13]
	global_load_b64 v[3:4], v1, s[16:17]
	global_load_b32 v8, v1, s[20:21]
	s_waitcnt vmcnt(2)
	v_subrev_nc_u32_e32 v1, s4, v5
	v_cmp_lt_i32_e32 vcc_lo, v5, v6
	v_mov_b32_e32 v5, s10
	s_and_saveexec_b32 s9, vcc_lo
	s_cbranch_execz .LBB19_8
; %bb.7:
	v_ashrrev_i32_e32 v2, 31, v1
	s_delay_alu instid0(VALU_DEP_1) | instskip(NEXT) | instid1(VALU_DEP_1)
	v_lshlrev_b64 v[9:10], 2, v[1:2]
	v_add_co_u32 v9, vcc_lo, s14, v9
	s_delay_alu instid0(VALU_DEP_2)
	v_add_co_ci_u32_e32 v10, vcc_lo, s15, v10, vcc_lo
	global_load_b32 v2, v[9:10], off
	s_waitcnt vmcnt(0)
	v_subrev_nc_u32_e32 v5, s4, v2
.LBB19_8:
	s_or_b32 exec_lo, exec_lo, s9
	s_clause 0x2
	s_load_b128 s[20:23], s[0:1], 0x58
	s_load_b64 s[12:13], s[0:1], 0x28
	s_load_b64 s[16:17], s[0:1], 0x48
	s_waitcnt vmcnt(1)
	v_subrev_nc_u32_e32 v2, s5, v3
	v_cmp_lt_i32_e32 vcc_lo, v3, v4
	v_mov_b32_e32 v3, s10
	s_and_saveexec_b32 s0, vcc_lo
	s_cbranch_execz .LBB19_10
; %bb.9:
	v_ashrrev_i32_e32 v3, 31, v2
	s_delay_alu instid0(VALU_DEP_1) | instskip(NEXT) | instid1(VALU_DEP_1)
	v_lshlrev_b64 v[9:10], 2, v[2:3]
	v_add_co_u32 v9, vcc_lo, s18, v9
	s_delay_alu instid0(VALU_DEP_2)
	v_add_co_ci_u32_e32 v10, vcc_lo, s19, v10, vcc_lo
	global_load_b32 v3, v[9:10], off
	s_waitcnt vmcnt(0)
	v_subrev_nc_u32_e32 v3, s5, v3
.LBB19_10:
	s_or_b32 exec_lo, exec_lo, s0
	s_movk_i32 s0, 0xc0
	v_and_b32_e32 v10, 63, v0
	v_and_or_b32 v30, v0, s0, 0x4800
	v_mbcnt_lo_u32_b32 v0, -1, 0
	v_subrev_nc_u32_e32 v32, s5, v4
	v_min_i32_e32 v45, v3, v5
	v_add_nc_u32_e32 v4, v1, v10
	s_mov_b32 s26, 0
	v_or_b32_e32 v1, 32, v0
	v_xor_b32_e32 v3, 16, v0
	v_subrev_nc_u32_e32 v29, s4, v6
	s_mov_b32 s27, s26
	s_waitcnt vmcnt(0)
	v_subrev_nc_u32_e32 v33, s6, v8
	v_cmp_gt_i32_e32 vcc_lo, 32, v1
	v_mul_u32_u24_e32 v7, 0x240, v7
	v_xor_b32_e32 v5, 2, v0
	s_mov_b32 s28, s26
	s_mov_b32 s29, s26
	v_dual_cndmask_b32 v1, v0, v1 :: v_dual_add_nc_u32 v6, v2, v10
	v_xor_b32_e32 v2, 63, v10
	v_cmp_gt_i32_e32 vcc_lo, 32, v3
	v_add_nc_u32_e32 v35, s6, v10
	s_delay_alu instid0(VALU_DEP_4)
	v_dual_mov_b32 v11, s26 :: v_dual_lshlrev_b32 v36, 2, v1
	v_xor_b32_e32 v1, 8, v0
	v_lshrrev_b64 v[8:9], v2, -1
	v_cndmask_b32_e32 v2, v0, v3, vcc_lo
	v_xor_b32_e32 v3, 4, v0
	v_lshlrev_b32_e32 v31, 3, v7
	v_cmp_gt_i32_e32 vcc_lo, 32, v1
	v_xor_b32_e32 v7, 1, v0
	s_cmp_lg_u32 s8, 0
	v_mov_b32_e32 v13, s28
	v_mad_u32_u24 v34, 0x48, v10, v31
	v_cndmask_b32_e32 v1, v0, v1, vcc_lo
	v_cmp_gt_i32_e32 vcc_lo, 32, v3
	s_cselect_b32 s1, -1, 0
	s_cmp_eq_u32 s8, 0
	v_add_nc_u32_e32 v42, v30, v10
	v_dual_mov_b32 v10, 0 :: v_dual_cndmask_b32 v3, v0, v3
	v_cmp_gt_i32_e32 vcc_lo, 32, v5
	v_lshlrev_b32_e32 v38, 2, v1
	v_mov_b32_e32 v12, s27
	s_cselect_b32 s6, 8, 24
	v_lshlrev_b32_e32 v39, 2, v3
	v_cndmask_b32_e32 v5, v0, v5, vcc_lo
	v_cmp_gt_i32_e32 vcc_lo, 32, v7
	v_lshlrev_b32_e32 v37, 2, v2
	v_mov_b32_e32 v15, v10
	v_dual_mov_b32 v16, v10 :: v_dual_mov_b32 v43, 1
	v_cndmask_b32_e32 v0, v0, v7, vcc_lo
	v_lshlrev_b32_e32 v40, 2, v5
	v_mov_b32_e32 v14, s29
	s_cselect_b32 s8, 16, 48
	s_cselect_b32 s9, 24, 8
	v_lshlrev_b32_e32 v41, 2, v0
	s_cselect_b32 s11, 40, 56
	s_cselect_b32 s24, 48, 16
	;; [unrolled: 1-line block ×3, first 2 shown]
	s_branch .LBB19_12
.LBB19_11:                              ;   in Loop: Header=BB19_12 Depth=1
	s_or_b32 exec_lo, exec_lo, s28
	ds_bpermute_b32 v0, v36, v44
	s_bcnt1_i32_b32 s28, vcc_lo
	s_delay_alu instid0(SALU_CYCLE_1)
	v_add_nc_u32_e32 v33, s28, v33
	s_waitcnt lgkmcnt(0)
	v_min_i32_e32 v0, v0, v44
	ds_bpermute_b32 v1, v37, v0
	s_waitcnt lgkmcnt(0)
	v_min_i32_e32 v0, v1, v0
	ds_bpermute_b32 v1, v38, v0
	;; [unrolled: 3-line block ×5, first 2 shown]
	s_waitcnt lgkmcnt(0)
	v_min_i32_e32 v45, v1, v0
	s_delay_alu instid0(VALU_DEP_1) | instskip(NEXT) | instid1(VALU_DEP_1)
	v_cmp_le_i32_e64 s0, s10, v45
	s_or_b32 s26, s0, s26
	s_delay_alu instid0(SALU_CYCLE_1)
	s_and_not1_b32 exec_lo, exec_lo, s26
	s_cbranch_execz .LBB19_40
.LBB19_12:                              ; =>This Loop Header: Depth=1
                                        ;     Child Loop BB19_15 Depth 2
                                        ;     Child Loop BB19_28 Depth 2
	v_mov_b32_e32 v44, s10
	s_mov_b32 s28, exec_lo
	ds_store_2addr_b64 v34, v[11:12], v[13:14] offset1:1
	ds_store_2addr_b64 v34, v[11:12], v[13:14] offset0:2 offset1:3
	ds_store_2addr_b64 v34, v[11:12], v[13:14] offset0:4 offset1:5
	;; [unrolled: 1-line block ×3, first 2 shown]
	ds_store_b8 v42, v10
	ds_store_b64 v34, v[15:16] offset:64
	s_waitcnt lgkmcnt(0)
	buffer_gl0_inv
	v_cmpx_lt_i32_e64 v4, v29
	s_cbranch_execz .LBB19_25
; %bb.13:                               ;   in Loop: Header=BB19_12 Depth=1
	v_mad_u64_u32 v[0:1], null, v4, 9, 8
	v_mov_b32_e32 v44, s10
	s_mov_b32 s29, 0
	s_branch .LBB19_15
.LBB19_14:                              ;   in Loop: Header=BB19_15 Depth=2
	s_or_b32 exec_lo, exec_lo, s31
	s_delay_alu instid0(SALU_CYCLE_1) | instskip(NEXT) | instid1(SALU_CYCLE_1)
	s_and_b32 s0, exec_lo, s30
	s_or_b32 s29, s0, s29
	s_delay_alu instid0(SALU_CYCLE_1)
	s_and_not1_b32 exec_lo, exec_lo, s29
	s_cbranch_execz .LBB19_24
.LBB19_15:                              ;   Parent Loop BB19_12 Depth=1
                                        ; =>  This Inner Loop Header: Depth=2
	v_ashrrev_i32_e32 v5, 31, v4
	s_mov_b32 s30, exec_lo
	s_delay_alu instid0(VALU_DEP_1) | instskip(NEXT) | instid1(VALU_DEP_1)
	v_lshlrev_b64 v[1:2], 2, v[4:5]
	v_add_co_u32 v1, vcc_lo, s14, v1
	s_delay_alu instid0(VALU_DEP_2) | instskip(SKIP_3) | instid1(VALU_DEP_1)
	v_add_co_ci_u32_e32 v2, vcc_lo, s15, v2, vcc_lo
	global_load_b32 v1, v[1:2], off
	s_waitcnt vmcnt(0)
	v_subrev_nc_u32_e32 v2, s4, v1
	v_sub_nc_u32_e32 v1, v2, v45
	s_delay_alu instid0(VALU_DEP_1)
	v_cmp_gt_u32_e64 s0, 64, v1
	v_cmpx_lt_u32_e32 63, v1
	s_xor_b32 s30, exec_lo, s30
; %bb.16:                               ;   in Loop: Header=BB19_15 Depth=2
	v_min_i32_e32 v44, v2, v44
                                        ; implicit-def: $vgpr1
; %bb.17:                               ;   in Loop: Header=BB19_15 Depth=2
	s_and_not1_saveexec_b32 s30, s30
	s_cbranch_execz .LBB19_22
; %bb.18:                               ;   in Loop: Header=BB19_15 Depth=2
	v_add_nc_u32_e32 v9, -8, v0
	v_add_nc_u32_e32 v17, -2, v0
	;; [unrolled: 1-line block ×5, first 2 shown]
	v_lshlrev_b64 v[2:3], 3, v[9:10]
	v_add_nc_u32_e32 v9, -5, v0
	s_delay_alu instid0(VALU_DEP_2) | instskip(NEXT) | instid1(VALU_DEP_3)
	v_add_co_u32 v2, vcc_lo, s12, v2
	v_add_co_ci_u32_e32 v3, vcc_lo, s13, v3, vcc_lo
	s_and_not1_b32 vcc_lo, exec_lo, s1
	global_load_b64 v[18:19], v[2:3], off
	v_add_nc_u32_e32 v3, v30, v1
	v_mul_lo_u32 v1, 0x48, v1
	v_add_nc_u32_e32 v2, -1, v0
	s_delay_alu instid0(VALU_DEP_2) | instskip(SKIP_3) | instid1(VALU_DEP_2)
	v_add_nc_u32_e32 v5, v31, v1
	s_waitcnt vmcnt(0)
	v_mul_f32_e64 v26, v19, -s3
	v_mul_f32_e32 v27, s7, v19
	v_dual_fmac_f32 v26, s7, v18 :: v_dual_add_nc_u32 v19, -3, v0
	s_delay_alu instid0(VALU_DEP_2)
	v_fmac_f32_e32 v27, s3, v18
	ds_store_b8 v3, v43
	ds_store_b64 v5, v[26:27]
	s_cbranch_vccnz .LBB19_20
; %bb.19:                               ;   in Loop: Header=BB19_15 Depth=2
	v_mov_b32_e32 v18, v10
	v_lshlrev_b64 v[27:28], 3, v[9:10]
	v_mov_b32_e32 v26, v10
	v_mov_b32_e32 v22, v10
	v_mov_b32_e32 v3, v10
	v_lshlrev_b64 v[46:47], 3, v[17:18]
	s_delay_alu instid0(VALU_DEP_4) | instskip(SKIP_2) | instid1(VALU_DEP_4)
	v_lshlrev_b64 v[48:49], 3, v[25:26]
	v_add_co_u32 v26, vcc_lo, s12, v27
	v_add_co_ci_u32_e32 v27, vcc_lo, s13, v28, vcc_lo
	v_add_co_u32 v46, vcc_lo, s12, v46
	v_lshlrev_b64 v[50:51], 3, v[21:22]
	v_add_co_ci_u32_e32 v47, vcc_lo, s13, v47, vcc_lo
	v_add_co_u32 v48, vcc_lo, s12, v48
	v_lshlrev_b64 v[52:53], 3, v[2:3]
	v_add_co_ci_u32_e32 v49, vcc_lo, s13, v49, vcc_lo
	v_add_co_u32 v50, vcc_lo, s12, v50
	v_add_co_ci_u32_e32 v51, vcc_lo, s13, v51, vcc_lo
	s_delay_alu instid0(VALU_DEP_4)
	v_add_co_u32 v52, vcc_lo, s12, v52
	v_add_co_ci_u32_e32 v53, vcc_lo, s13, v53, vcc_lo
	s_clause 0x4
	global_load_b64 v[26:27], v[26:27], off
	global_load_b64 v[46:47], v[46:47], off
	;; [unrolled: 1-line block ×5, first 2 shown]
	v_mov_b32_e32 v24, v10
	v_mov_b32_e32 v20, v10
	s_waitcnt vmcnt(4)
	v_mul_f32_e64 v60, v27, -s3
	v_mul_f32_e32 v61, s7, v27
	s_waitcnt vmcnt(2)
	v_mul_f32_e32 v63, s7, v49
	s_waitcnt vmcnt(1)
	v_mul_f32_e32 v65, s7, v51
	v_lshlrev_b64 v[54:55], 3, v[23:24]
	v_fmac_f32_e32 v60, s7, v26
	v_fmac_f32_e32 v61, s3, v26
	v_mul_f32_e64 v26, v47, -s3
	v_mov_b32_e32 v1, v10
	v_lshlrev_b64 v[56:57], 3, v[19:20]
	v_add_co_u32 v54, vcc_lo, s12, v54
	s_delay_alu instid0(VALU_DEP_4) | instskip(NEXT) | instid1(VALU_DEP_4)
	v_fmac_f32_e32 v26, s7, v46
	v_lshlrev_b64 v[58:59], 3, v[0:1]
	v_add_co_ci_u32_e32 v55, vcc_lo, s13, v55, vcc_lo
	v_add_co_u32 v56, vcc_lo, s12, v56
	v_add_co_ci_u32_e32 v57, vcc_lo, s13, v57, vcc_lo
	s_delay_alu instid0(VALU_DEP_4)
	v_add_co_u32 v58, vcc_lo, s12, v58
	v_add_co_ci_u32_e32 v59, vcc_lo, s13, v59, vcc_lo
	s_clause 0x2
	global_load_b64 v[54:55], v[54:55], off
	global_load_b64 v[56:57], v[56:57], off
	;; [unrolled: 1-line block ×3, first 2 shown]
	v_mul_f32_e32 v27, s7, v47
	v_mul_f32_e64 v62, v49, -s3
	v_mul_f32_e64 v64, v51, -s3
	s_waitcnt vmcnt(3)
	v_mul_f32_e64 v66, v53, -s3
	v_mul_f32_e32 v67, s7, v53
	v_dual_fmac_f32 v65, s3, v50 :: v_dual_fmac_f32 v62, s7, v48
	v_fmac_f32_e32 v64, s7, v50
	s_delay_alu instid0(VALU_DEP_4) | instskip(NEXT) | instid1(VALU_DEP_4)
	v_fmac_f32_e32 v66, s7, v52
	v_fmac_f32_e32 v67, s3, v52
	s_waitcnt vmcnt(2)
	v_mul_f32_e64 v68, v55, -s3
	v_mul_f32_e32 v69, s7, v55
	s_waitcnt vmcnt(1)
	v_mul_f32_e64 v70, v57, -s3
	v_mul_f32_e32 v71, s7, v57
	s_waitcnt vmcnt(0)
	v_mul_f32_e64 v72, v59, -s3
	v_dual_mul_f32 v73, s7, v59 :: v_dual_fmac_f32 v68, s7, v54
	v_dual_fmac_f32 v27, s3, v46 :: v_dual_fmac_f32 v70, s7, v56
	s_delay_alu instid0(VALU_DEP_3)
	v_dual_fmac_f32 v63, s3, v48 :: v_dual_fmac_f32 v72, s7, v58
	v_fmac_f32_e32 v69, s3, v54
	v_fmac_f32_e32 v71, s3, v56
	;; [unrolled: 1-line block ×3, first 2 shown]
	ds_store_2addr_b64 v5, v[60:61], v[26:27] offset0:1 offset1:2
	ds_store_2addr_b64 v5, v[62:63], v[64:65] offset0:3 offset1:4
	;; [unrolled: 1-line block ×4, first 2 shown]
	s_cbranch_execz .LBB19_21
	s_branch .LBB19_22
.LBB19_20:                              ;   in Loop: Header=BB19_15 Depth=2
.LBB19_21:                              ;   in Loop: Header=BB19_15 Depth=2
	v_mov_b32_e32 v26, v10
	v_mov_b32_e32 v24, v10
	;; [unrolled: 1-line block ×3, first 2 shown]
	v_lshlrev_b64 v[27:28], 3, v[9:10]
	v_mov_b32_e32 v20, v10
	v_lshlrev_b64 v[25:26], 3, v[25:26]
	v_lshlrev_b64 v[23:24], 3, v[23:24]
	;; [unrolled: 1-line block ×3, first 2 shown]
	s_delay_alu instid0(VALU_DEP_4) | instskip(NEXT) | instid1(VALU_DEP_4)
	v_lshlrev_b64 v[19:20], 3, v[19:20]
	v_add_co_u32 v25, vcc_lo, s12, v25
	v_add_co_ci_u32_e32 v26, vcc_lo, s13, v26, vcc_lo
	v_add_co_u32 v23, vcc_lo, s12, v23
	v_add_co_ci_u32_e32 v24, vcc_lo, s13, v24, vcc_lo
	;; [unrolled: 2-line block ×5, first 2 shown]
	s_clause 0x4
	global_load_b64 v[25:26], v[25:26], off
	global_load_b64 v[23:24], v[23:24], off
	;; [unrolled: 1-line block ×5, first 2 shown]
	v_mov_b32_e32 v18, v10
	s_waitcnt vmcnt(4)
	v_mul_f32_e64 v48, v26, -s3
	v_mov_b32_e32 v3, v10
	s_waitcnt vmcnt(3)
	v_mul_f32_e64 v50, v24, -s3
	v_mov_b32_e32 v1, v10
	s_waitcnt vmcnt(0)
	v_mul_f32_e32 v57, s7, v20
	v_lshlrev_b64 v[17:18], 3, v[17:18]
	v_fmac_f32_e32 v48, s7, v25
	v_fmac_f32_e32 v50, s7, v23
	v_lshlrev_b64 v[2:3], 3, v[2:3]
	v_lshlrev_b64 v[46:47], 3, v[0:1]
	v_mul_f32_e32 v49, s7, v26
	v_add_co_u32 v17, vcc_lo, s12, v17
	v_add_co_ci_u32_e32 v18, vcc_lo, s13, v18, vcc_lo
	v_add_co_u32 v1, vcc_lo, s12, v2
	v_add_co_ci_u32_e32 v2, vcc_lo, s13, v3, vcc_lo
	;; [unrolled: 2-line block ×3, first 2 shown]
	s_clause 0x2
	global_load_b64 v[17:18], v[17:18], off
	global_load_b64 v[1:2], v[1:2], off
	global_load_b64 v[46:47], v[46:47], off
	v_mul_f32_e32 v51, s7, v24
	v_mul_f32_e64 v52, v28, -s3
	v_mul_f32_e32 v53, s7, v28
	v_mul_f32_e64 v54, v22, -s3
	;; [unrolled: 2-line block ×3, first 2 shown]
	v_fmac_f32_e32 v49, s3, v25
	v_fmac_f32_e32 v57, s3, v19
	s_delay_alu instid0(VALU_DEP_4) | instskip(NEXT) | instid1(VALU_DEP_4)
	v_dual_fmac_f32 v52, s7, v27 :: v_dual_fmac_f32 v55, s3, v21
	v_fmac_f32_e32 v56, s7, v19
	v_fmac_f32_e32 v54, s7, v21
	s_waitcnt vmcnt(2)
	v_mul_f32_e64 v58, v18, -s3
	v_mul_f32_e32 v59, s7, v18
	s_waitcnt vmcnt(1)
	v_mul_f32_e64 v60, v2, -s3
	v_mul_f32_e32 v61, s7, v2
	s_waitcnt vmcnt(0)
	v_mul_f32_e64 v2, v47, -s3
	v_dual_mul_f32 v3, s7, v47 :: v_dual_fmac_f32 v58, s7, v17
	v_dual_fmac_f32 v51, s3, v23 :: v_dual_fmac_f32 v60, s7, v1
	s_delay_alu instid0(VALU_DEP_3)
	v_dual_fmac_f32 v53, s3, v27 :: v_dual_fmac_f32 v2, s7, v46
	v_fmac_f32_e32 v59, s3, v17
	v_fmac_f32_e32 v61, s3, v1
	;; [unrolled: 1-line block ×3, first 2 shown]
	ds_store_2addr_b64 v5, v[48:49], v[50:51] offset0:1 offset1:2
	ds_store_2addr_b64 v5, v[52:53], v[54:55] offset0:3 offset1:4
	;; [unrolled: 1-line block ×4, first 2 shown]
.LBB19_22:                              ;   in Loop: Header=BB19_15 Depth=2
	s_or_b32 exec_lo, exec_lo, s30
	s_mov_b32 s30, -1
	s_and_saveexec_b32 s31, s0
	s_cbranch_execz .LBB19_14
; %bb.23:                               ;   in Loop: Header=BB19_15 Depth=2
	v_add_nc_u32_e32 v4, 64, v4
	v_add_nc_u32_e32 v0, 0x240, v0
	s_delay_alu instid0(VALU_DEP_2)
	v_cmp_ge_i32_e32 vcc_lo, v4, v29
	s_or_not1_b32 s30, vcc_lo, exec_lo
	s_branch .LBB19_14
.LBB19_24:                              ;   in Loop: Header=BB19_12 Depth=1
	s_or_b32 exec_lo, exec_lo, s29
.LBB19_25:                              ;   in Loop: Header=BB19_12 Depth=1
	s_delay_alu instid0(SALU_CYCLE_1) | instskip(NEXT) | instid1(SALU_CYCLE_1)
	s_or_b32 exec_lo, exec_lo, s28
	s_mov_b32 s28, exec_lo
	s_waitcnt lgkmcnt(0)
	buffer_gl0_inv
	v_cmpx_lt_i32_e64 v6, v32
	s_cbranch_execz .LBB19_38
; %bb.26:                               ;   in Loop: Header=BB19_12 Depth=1
	v_mad_u64_u32 v[17:18], null, v6, 9, 8
	s_mov_b32 s29, 0
	s_branch .LBB19_28
.LBB19_27:                              ;   in Loop: Header=BB19_28 Depth=2
	s_or_b32 exec_lo, exec_lo, s31
	s_delay_alu instid0(SALU_CYCLE_1) | instskip(NEXT) | instid1(SALU_CYCLE_1)
	s_and_b32 s0, exec_lo, s30
	s_or_b32 s29, s0, s29
	s_delay_alu instid0(SALU_CYCLE_1)
	s_and_not1_b32 exec_lo, exec_lo, s29
	s_cbranch_execz .LBB19_37
.LBB19_28:                              ;   Parent Loop BB19_12 Depth=1
                                        ; =>  This Inner Loop Header: Depth=2
	v_ashrrev_i32_e32 v7, 31, v6
	s_mov_b32 s30, exec_lo
	s_delay_alu instid0(VALU_DEP_1) | instskip(NEXT) | instid1(VALU_DEP_1)
	v_lshlrev_b64 v[0:1], 2, v[6:7]
	v_add_co_u32 v0, vcc_lo, s18, v0
	s_delay_alu instid0(VALU_DEP_2) | instskip(SKIP_3) | instid1(VALU_DEP_1)
	v_add_co_ci_u32_e32 v1, vcc_lo, s19, v1, vcc_lo
	global_load_b32 v0, v[0:1], off
	s_waitcnt vmcnt(0)
	v_subrev_nc_u32_e32 v0, s5, v0
	v_sub_nc_u32_e32 v7, v0, v45
	s_delay_alu instid0(VALU_DEP_1)
	v_cmp_gt_u32_e64 s0, 64, v7
	v_cmpx_lt_u32_e32 63, v7
	s_xor_b32 s30, exec_lo, s30
; %bb.29:                               ;   in Loop: Header=BB19_28 Depth=2
	v_min_i32_e32 v44, v0, v44
                                        ; implicit-def: $vgpr7
; %bb.30:                               ;   in Loop: Header=BB19_28 Depth=2
	s_and_not1_saveexec_b32 s30, s30
	s_cbranch_execz .LBB19_35
; %bb.31:                               ;   in Loop: Header=BB19_28 Depth=2
	v_add_nc_u32_e32 v9, -8, v17
	v_add_nc_u32_e32 v19, -2, v17
	;; [unrolled: 1-line block ×5, first 2 shown]
	v_lshlrev_b64 v[0:1], 3, v[9:10]
	v_add_nc_u32_e32 v9, -5, v17
	s_delay_alu instid0(VALU_DEP_2) | instskip(NEXT) | instid1(VALU_DEP_3)
	v_add_co_u32 v0, vcc_lo, s16, v0
	v_add_co_ci_u32_e32 v1, vcc_lo, s17, v1, vcc_lo
	s_and_not1_b32 vcc_lo, exec_lo, s1
	global_load_b64 v[20:21], v[0:1], off
	v_mul_lo_u32 v0, 0x48, v7
	v_add_nc_u32_e32 v7, v30, v7
	s_delay_alu instid0(VALU_DEP_2)
	v_add_nc_u32_e32 v5, v31, v0
	ds_load_2addr_b64 v[0:3], v5 offset1:1
	s_waitcnt vmcnt(0) lgkmcnt(0)
	v_fma_f32 v18, s2, v20, v0
	v_fma_f32 v47, s25, v20, v1
	v_add_nc_u32_e32 v0, -1, v17
	s_delay_alu instid0(VALU_DEP_3) | instskip(NEXT) | instid1(VALU_DEP_3)
	v_fma_f32 v46, -s25, v21, v18
	v_fmac_f32_e32 v47, s2, v21
	v_add_nc_u32_e32 v21, -3, v17
	ds_store_b8 v7, v43
	ds_store_b64 v5, v[46:47]
	s_cbranch_vccnz .LBB19_33
; %bb.32:                               ;   in Loop: Header=BB19_28 Depth=2
	v_mov_b32_e32 v20, v10
	v_lshlrev_b64 v[46:47], 3, v[9:10]
	v_mov_b32_e32 v28, v10
	v_mov_b32_e32 v24, v10
	;; [unrolled: 1-line block ×3, first 2 shown]
	v_lshlrev_b64 v[48:49], 3, v[19:20]
	v_mov_b32_e32 v26, v10
	v_lshlrev_b64 v[50:51], 3, v[27:28]
	v_add_co_u32 v46, vcc_lo, s16, v46
	v_add_co_ci_u32_e32 v47, vcc_lo, s17, v47, vcc_lo
	v_add_co_u32 v48, vcc_lo, s16, v48
	v_lshlrev_b64 v[52:53], 3, v[23:24]
	v_add_co_ci_u32_e32 v49, vcc_lo, s17, v49, vcc_lo
	v_add_co_u32 v50, vcc_lo, s16, v50
	v_lshlrev_b64 v[54:55], 3, v[0:1]
	v_add_co_ci_u32_e32 v51, vcc_lo, s17, v51, vcc_lo
	v_add_co_u32 v52, vcc_lo, s16, v52
	v_add_co_ci_u32_e32 v53, vcc_lo, s17, v53, vcc_lo
	s_delay_alu instid0(VALU_DEP_4)
	v_add_co_u32 v54, vcc_lo, s16, v54
	v_mov_b32_e32 v22, v10
	v_add_co_ci_u32_e32 v55, vcc_lo, s17, v55, vcc_lo
	v_lshlrev_b64 v[56:57], 3, v[25:26]
	s_clause 0x4
	global_load_b64 v[58:59], v[46:47], off
	global_load_b64 v[60:61], v[48:49], off
	;; [unrolled: 1-line block ×5, first 2 shown]
	v_mov_b32_e32 v18, v10
	v_lshlrev_b64 v[46:47], 3, v[21:22]
	v_add_co_u32 v48, vcc_lo, s16, v56
	s_delay_alu instid0(VALU_DEP_3) | instskip(SKIP_1) | instid1(VALU_DEP_4)
	v_lshlrev_b64 v[50:51], 3, v[17:18]
	v_add_co_ci_u32_e32 v49, vcc_lo, s17, v57, vcc_lo
	v_add_co_u32 v46, vcc_lo, s16, v46
	v_add_co_ci_u32_e32 v47, vcc_lo, s17, v47, vcc_lo
	s_delay_alu instid0(VALU_DEP_4)
	v_add_co_u32 v50, vcc_lo, s16, v50
	v_add_co_ci_u32_e32 v51, vcc_lo, s17, v51, vcc_lo
	s_clause 0x2
	global_load_b64 v[68:69], v[48:49], off
	global_load_b64 v[70:71], v[46:47], off
	;; [unrolled: 1-line block ×3, first 2 shown]
	ds_load_2addr_b64 v[46:49], v5 offset0:2 offset1:3
	ds_load_2addr_b64 v[50:53], v5 offset0:4 offset1:5
	;; [unrolled: 1-line block ×3, first 2 shown]
	ds_load_b64 v[74:75], v5 offset:64
	s_waitcnt vmcnt(7)
	v_fma_f32 v1, s2, v58, v2
	v_fma_f32 v77, s25, v58, v3
	s_waitcnt vmcnt(6) lgkmcnt(3)
	v_fma_f32 v47, s25, v60, v47
	s_waitcnt vmcnt(5)
	v_fma_f32 v7, s2, v62, v48
	v_fmac_f32_e32 v49, s25, v62
	v_fma_f32 v76, -s25, v59, v1
	v_fma_f32 v1, s2, v60, v46
	v_fmac_f32_e32 v47, s2, v61
	s_waitcnt vmcnt(4) lgkmcnt(2)
	v_fma_f32 v18, s2, v64, v50
	v_fma_f32 v51, s25, v64, v51
	s_waitcnt vmcnt(3)
	v_fma_f32 v20, s2, v66, v52
	v_fmac_f32_e32 v53, s25, v66
	v_fmac_f32_e32 v77, s2, v59
	v_fma_f32 v46, -s25, v61, v1
	v_fma_f32 v48, -s25, v63, v7
	v_fmac_f32_e32 v49, s2, v63
	v_fma_f32 v50, -s25, v65, v18
	v_fmac_f32_e32 v51, s2, v65
	v_fma_f32 v52, -s25, v67, v20
	v_fmac_f32_e32 v53, s2, v67
	s_waitcnt vmcnt(2) lgkmcnt(1)
	v_fma_f32 v22, s2, v68, v54
	v_fma_f32 v55, s25, v68, v55
	s_waitcnt vmcnt(1)
	v_fma_f32 v24, s2, v70, v56
	v_fmac_f32_e32 v57, s25, v70
	s_waitcnt vmcnt(0) lgkmcnt(0)
	v_fma_f32 v26, s2, v72, v74
	v_fmac_f32_e32 v75, s25, v72
	v_fma_f32 v54, -s25, v69, v22
	v_fmac_f32_e32 v55, s2, v69
	v_fma_f32 v56, -s25, v71, v24
	v_fmac_f32_e32 v57, s2, v71
	v_fma_f32 v74, -s25, v73, v26
	v_fmac_f32_e32 v75, s2, v73
	ds_store_2addr_b64 v5, v[76:77], v[46:47] offset0:1 offset1:2
	ds_store_2addr_b64 v5, v[48:49], v[50:51] offset0:3 offset1:4
	;; [unrolled: 1-line block ×4, first 2 shown]
	s_cbranch_execz .LBB19_34
	s_branch .LBB19_35
.LBB19_33:                              ;   in Loop: Header=BB19_28 Depth=2
.LBB19_34:                              ;   in Loop: Header=BB19_28 Depth=2
	v_mov_b32_e32 v28, v10
	v_mov_b32_e32 v26, v10
	;; [unrolled: 1-line block ×3, first 2 shown]
	v_lshlrev_b64 v[46:47], 3, v[9:10]
	v_mov_b32_e32 v22, v10
	v_lshlrev_b64 v[27:28], 3, v[27:28]
	v_lshlrev_b64 v[25:26], 3, v[25:26]
	v_lshlrev_b64 v[23:24], 3, v[23:24]
	v_mov_b32_e32 v20, v10
	v_lshlrev_b64 v[21:22], 3, v[21:22]
	v_mov_b32_e32 v1, v10
	v_add_co_u32 v27, vcc_lo, s16, v27
	v_add_co_ci_u32_e32 v28, vcc_lo, s17, v28, vcc_lo
	v_add_co_u32 v25, vcc_lo, s16, v25
	v_add_co_ci_u32_e32 v26, vcc_lo, s17, v26, vcc_lo
	;; [unrolled: 2-line block ×5, first 2 shown]
	s_clause 0x4
	global_load_b64 v[27:28], v[27:28], off
	global_load_b64 v[50:51], v[25:26], off
	;; [unrolled: 1-line block ×5, first 2 shown]
	v_lshlrev_b64 v[19:20], 3, v[19:20]
	v_lshlrev_b64 v[0:1], 3, v[0:1]
	s_delay_alu instid0(VALU_DEP_2) | instskip(NEXT) | instid1(VALU_DEP_3)
	v_add_co_u32 v19, vcc_lo, s16, v19
	v_add_co_ci_u32_e32 v20, vcc_lo, s17, v20, vcc_lo
	s_delay_alu instid0(VALU_DEP_3) | instskip(NEXT) | instid1(VALU_DEP_4)
	v_add_co_u32 v0, vcc_lo, s16, v0
	v_add_co_ci_u32_e32 v1, vcc_lo, s17, v1, vcc_lo
	s_waitcnt vmcnt(4)
	v_dual_fmac_f32 v3, s25, v27 :: v_dual_mov_b32 v18, v10
	v_fma_f32 v2, s2, v27, v2
	s_delay_alu instid0(VALU_DEP_2) | instskip(NEXT) | instid1(VALU_DEP_3)
	v_fmac_f32_e32 v3, s2, v28
	v_lshlrev_b64 v[21:22], 3, v[17:18]
	s_delay_alu instid0(VALU_DEP_1) | instskip(NEXT) | instid1(VALU_DEP_2)
	v_add_co_u32 v21, vcc_lo, s16, v21
	v_add_co_ci_u32_e32 v22, vcc_lo, s17, v22, vcc_lo
	s_clause 0x2
	global_load_b64 v[58:59], v[19:20], off
	global_load_b64 v[0:1], v[0:1], off
	;; [unrolled: 1-line block ×3, first 2 shown]
	ds_load_2addr_b64 v[18:21], v5 offset0:2 offset1:3
	ds_load_2addr_b64 v[22:25], v5 offset0:4 offset1:5
	;; [unrolled: 1-line block ×3, first 2 shown]
	ds_load_b64 v[62:63], v5 offset:64
	s_waitcnt vmcnt(5) lgkmcnt(3)
	v_fmac_f32_e32 v21, s25, v52
	s_waitcnt vmcnt(3) lgkmcnt(2)
	v_fmac_f32_e32 v25, s25, v56
	v_fma_f32 v7, s2, v50, v18
	v_fma_f32 v19, s25, v50, v19
	;; [unrolled: 1-line block ×6, first 2 shown]
	v_fmac_f32_e32 v21, s2, v53
	v_fmac_f32_e32 v25, s2, v57
	v_fma_f32 v18, -s25, v51, v7
	v_fmac_f32_e32 v19, s2, v51
	v_fma_f32 v22, -s25, v55, v20
	v_fma_f32 v20, -s25, v57, v24
	v_fmac_f32_e32 v23, s2, v55
	s_waitcnt vmcnt(2) lgkmcnt(1)
	v_fma_f32 v26, s2, v58, v46
	s_waitcnt vmcnt(1)
	v_fmac_f32_e32 v49, s25, v0
	v_fma_f32 v46, s2, v0, v48
	v_fma_f32 v27, s25, v58, v47
	s_waitcnt vmcnt(0) lgkmcnt(0)
	v_fma_f32 v47, s2, v60, v62
	v_fmac_f32_e32 v63, s25, v60
	v_fmac_f32_e32 v49, s2, v1
	v_fma_f32 v0, -s25, v28, v2
	v_fma_f32 v24, -s25, v1, v46
	v_mov_b32_e32 v1, v3
	v_fma_f32 v2, -s25, v53, v9
	v_mov_b32_e32 v3, v21
	v_fma_f32 v26, -s25, v59, v26
	v_fmac_f32_e32 v27, s2, v59
	v_mov_b32_e32 v21, v25
	v_fma_f32 v62, -s25, v61, v47
	v_fmac_f32_e32 v63, s2, v61
	v_mov_b32_e32 v25, v49
	ds_store_2addr_b64 v5, v[0:1], v[18:19] offset0:1 offset1:2
	ds_store_2addr_b64 v5, v[2:3], v[22:23] offset0:3 offset1:4
	;; [unrolled: 1-line block ×4, first 2 shown]
.LBB19_35:                              ;   in Loop: Header=BB19_28 Depth=2
	s_or_b32 exec_lo, exec_lo, s30
	s_mov_b32 s30, -1
	s_and_saveexec_b32 s31, s0
	s_cbranch_execz .LBB19_27
; %bb.36:                               ;   in Loop: Header=BB19_28 Depth=2
	v_add_nc_u32_e32 v6, 64, v6
	v_add_nc_u32_e32 v17, 0x240, v17
	s_delay_alu instid0(VALU_DEP_2)
	v_cmp_ge_i32_e32 vcc_lo, v6, v32
	s_or_not1_b32 s30, vcc_lo, exec_lo
	s_branch .LBB19_27
.LBB19_37:                              ;   in Loop: Header=BB19_12 Depth=1
	s_or_b32 exec_lo, exec_lo, s29
.LBB19_38:                              ;   in Loop: Header=BB19_12 Depth=1
	s_delay_alu instid0(SALU_CYCLE_1)
	s_or_b32 exec_lo, exec_lo, s28
	s_waitcnt lgkmcnt(0)
	buffer_gl0_inv
	ds_load_u8 v0, v42
	s_mov_b32 s28, exec_lo
	s_waitcnt lgkmcnt(0)
	v_and_b32_e32 v1, 1, v0
	v_cmp_ne_u16_e32 vcc_lo, 0, v0
	s_delay_alu instid0(VALU_DEP_2)
	v_cmpx_eq_u32_e32 1, v1
	s_cbranch_execz .LBB19_11
; %bb.39:                               ;   in Loop: Header=BB19_12 Depth=1
	v_dual_mov_b32 v19, v10 :: v_dual_and_b32 v0, vcc_lo, v8
	v_add_nc_u32_e32 v5, v35, v45
	v_add_nc_u32_e32 v7, s8, v34
	;; [unrolled: 1-line block ×3, first 2 shown]
	s_delay_alu instid0(VALU_DEP_4) | instskip(SKIP_3) | instid1(VALU_DEP_4)
	v_bcnt_u32_b32 v0, v0, 0
	v_add_nc_u32_e32 v59, s24, v34
	v_dual_mov_b32 v46, v10 :: v_dual_add_nc_u32 v61, s27, v34
	v_mov_b32_e32 v48, v10
	v_add3_u32 v17, v33, v0, -1
	ds_load_2addr_b64 v[0:3], v34 offset1:4
	v_mov_b32_e32 v50, v10
	v_ashrrev_i32_e32 v18, 31, v17
	v_lshl_add_u32 v9, v17, 3, v17
	v_mov_b32_e32 v21, v10
	v_mov_b32_e32 v23, v10
	s_delay_alu instid0(VALU_DEP_4) | instskip(NEXT) | instid1(VALU_DEP_4)
	v_lshlrev_b64 v[24:25], 2, v[17:18]
	v_add_nc_u32_e32 v20, 2, v9
	v_add_nc_u32_e32 v18, 1, v9
	v_lshlrev_b64 v[26:27], 3, v[9:10]
	v_add_nc_u32_e32 v22, 3, v9
	v_add_nc_u32_e32 v17, 4, v9
	v_add_co_u32 v24, s0, s20, v24
	v_lshlrev_b64 v[18:19], 3, v[18:19]
	v_add_co_ci_u32_e64 v25, s0, s21, v25, s0
	v_lshlrev_b64 v[20:21], 3, v[20:21]
	v_add_co_u32 v26, s0, s22, v26
	s_delay_alu instid0(VALU_DEP_1) | instskip(SKIP_3) | instid1(VALU_DEP_1)
	v_add_co_ci_u32_e64 v27, s0, s23, v27, s0
	v_lshlrev_b64 v[22:23], 3, v[22:23]
	global_store_b32 v[24:25], v5, off
	v_add_co_u32 v24, s0, s22, v18
	v_add_co_ci_u32_e64 v25, s0, s23, v19, s0
	v_add_co_u32 v19, s0, s22, v20
	s_delay_alu instid0(VALU_DEP_1)
	v_add_co_ci_u32_e64 v20, s0, s23, v21, s0
	v_mov_b32_e32 v18, v10
	v_add_co_u32 v21, s0, s22, v22
	v_add_nc_u32_e32 v5, s6, v34
	v_add_co_ci_u32_e64 v22, s0, s23, v23, s0
	v_add_nc_u32_e32 v23, s9, v34
	v_add_nc_u32_e32 v45, 5, v9
	v_lshlrev_b64 v[17:18], 3, v[17:18]
	ds_load_b64 v[51:52], v5
	ds_load_b64 v[53:54], v7
	;; [unrolled: 1-line block ×6, first 2 shown]
	ds_load_b64 v[63:64], v34 offset:64
	v_add_nc_u32_e32 v47, 6, v9
	v_add_nc_u32_e32 v49, 7, v9
	v_lshlrev_b64 v[45:46], 3, v[45:46]
	v_add_nc_u32_e32 v9, 8, v9
	v_add_co_u32 v17, s0, s22, v17
	v_lshlrev_b64 v[47:48], 3, v[47:48]
	v_add_co_ci_u32_e64 v18, s0, s23, v18, s0
	v_add_co_u32 v45, s0, s22, v45
	v_lshlrev_b64 v[49:50], 3, v[49:50]
	v_add_co_ci_u32_e64 v46, s0, s23, v46, s0
	;; [unrolled: 3-line block ×3, first 2 shown]
	v_add_co_u32 v49, s0, s22, v49
	s_delay_alu instid0(VALU_DEP_1) | instskip(NEXT) | instid1(VALU_DEP_4)
	v_add_co_ci_u32_e64 v50, s0, s23, v50, s0
	v_add_co_u32 v65, s0, s22, v65
	s_delay_alu instid0(VALU_DEP_1)
	v_add_co_ci_u32_e64 v66, s0, s23, v66, s0
	s_waitcnt lgkmcnt(7)
	global_store_b64 v[26:27], v[0:1], off
	s_waitcnt lgkmcnt(6)
	global_store_b64 v[24:25], v[51:52], off
	s_waitcnt lgkmcnt(5)
	global_store_b64 v[19:20], v[53:54], off
	s_waitcnt lgkmcnt(4)
	s_clause 0x1
	global_store_b64 v[21:22], v[55:56], off
	global_store_b64 v[17:18], v[2:3], off
	s_waitcnt lgkmcnt(3)
	global_store_b64 v[45:46], v[57:58], off
	s_waitcnt lgkmcnt(2)
	;; [unrolled: 2-line block ×4, first 2 shown]
	global_store_b64 v[65:66], v[63:64], off
	s_branch .LBB19_11
.LBB19_40:
	s_nop 0
	s_sendmsg sendmsg(MSG_DEALLOC_VGPRS)
	s_endpgm
.LBB19_41:
	s_load_b32 s7, s[2:3], 0x0
	v_cndmask_b32_e64 v1, 0, 1, s8
	s_and_not1_b32 vcc_lo, exec_lo, s8
	s_cbranch_vccnz .LBB19_2
.LBB19_42:
	s_load_b32 s3, s[2:3], 0x4
	s_delay_alu instid0(VALU_DEP_1)
	v_cmp_ne_u32_e32 vcc_lo, 1, v1
	s_mov_b32 s2, s24
	s_cbranch_vccnz .LBB19_3
.LBB19_43:
	s_load_b32 s2, s[24:25], 0x0
	v_cmp_ne_u32_e32 vcc_lo, 1, v1
	s_cbranch_vccz .LBB19_4
	s_branch .LBB19_5
	.section	.rodata,"a",@progbits
	.p2align	6, 0x0
	.amdhsa_kernel _ZN9rocsparseL39bsrgeam_wf_per_row_multipass_2_3_kernelILj256ELj3ELj64E21rocsparse_complex_numIfEEEv20rocsparse_direction_iiiNS_24const_host_device_scalarIT2_EEPKiS8_PKS5_S6_S8_S8_SA_S8_PiPS5_21rocsparse_index_base_SD_SD_b
		.amdhsa_group_segment_fixed_size 18688
		.amdhsa_private_segment_fixed_size 0
		.amdhsa_kernarg_size 120
		.amdhsa_user_sgpr_count 15
		.amdhsa_user_sgpr_dispatch_ptr 0
		.amdhsa_user_sgpr_queue_ptr 0
		.amdhsa_user_sgpr_kernarg_segment_ptr 1
		.amdhsa_user_sgpr_dispatch_id 0
		.amdhsa_user_sgpr_private_segment_size 0
		.amdhsa_wavefront_size32 1
		.amdhsa_uses_dynamic_stack 0
		.amdhsa_enable_private_segment 0
		.amdhsa_system_sgpr_workgroup_id_x 1
		.amdhsa_system_sgpr_workgroup_id_y 0
		.amdhsa_system_sgpr_workgroup_id_z 0
		.amdhsa_system_sgpr_workgroup_info 0
		.amdhsa_system_vgpr_workitem_id 0
		.amdhsa_next_free_vgpr 78
		.amdhsa_next_free_sgpr 32
		.amdhsa_reserve_vcc 1
		.amdhsa_float_round_mode_32 0
		.amdhsa_float_round_mode_16_64 0
		.amdhsa_float_denorm_mode_32 3
		.amdhsa_float_denorm_mode_16_64 3
		.amdhsa_dx10_clamp 1
		.amdhsa_ieee_mode 1
		.amdhsa_fp16_overflow 0
		.amdhsa_workgroup_processor_mode 1
		.amdhsa_memory_ordered 1
		.amdhsa_forward_progress 0
		.amdhsa_shared_vgpr_count 0
		.amdhsa_exception_fp_ieee_invalid_op 0
		.amdhsa_exception_fp_denorm_src 0
		.amdhsa_exception_fp_ieee_div_zero 0
		.amdhsa_exception_fp_ieee_overflow 0
		.amdhsa_exception_fp_ieee_underflow 0
		.amdhsa_exception_fp_ieee_inexact 0
		.amdhsa_exception_int_div_zero 0
	.end_amdhsa_kernel
	.section	.text._ZN9rocsparseL39bsrgeam_wf_per_row_multipass_2_3_kernelILj256ELj3ELj64E21rocsparse_complex_numIfEEEv20rocsparse_direction_iiiNS_24const_host_device_scalarIT2_EEPKiS8_PKS5_S6_S8_S8_SA_S8_PiPS5_21rocsparse_index_base_SD_SD_b,"axG",@progbits,_ZN9rocsparseL39bsrgeam_wf_per_row_multipass_2_3_kernelILj256ELj3ELj64E21rocsparse_complex_numIfEEEv20rocsparse_direction_iiiNS_24const_host_device_scalarIT2_EEPKiS8_PKS5_S6_S8_S8_SA_S8_PiPS5_21rocsparse_index_base_SD_SD_b,comdat
.Lfunc_end19:
	.size	_ZN9rocsparseL39bsrgeam_wf_per_row_multipass_2_3_kernelILj256ELj3ELj64E21rocsparse_complex_numIfEEEv20rocsparse_direction_iiiNS_24const_host_device_scalarIT2_EEPKiS8_PKS5_S6_S8_S8_SA_S8_PiPS5_21rocsparse_index_base_SD_SD_b, .Lfunc_end19-_ZN9rocsparseL39bsrgeam_wf_per_row_multipass_2_3_kernelILj256ELj3ELj64E21rocsparse_complex_numIfEEEv20rocsparse_direction_iiiNS_24const_host_device_scalarIT2_EEPKiS8_PKS5_S6_S8_S8_SA_S8_PiPS5_21rocsparse_index_base_SD_SD_b
                                        ; -- End function
	.section	.AMDGPU.csdata,"",@progbits
; Kernel info:
; codeLenInByte = 4480
; NumSgprs: 34
; NumVgprs: 78
; ScratchSize: 0
; MemoryBound: 0
; FloatMode: 240
; IeeeMode: 1
; LDSByteSize: 18688 bytes/workgroup (compile time only)
; SGPRBlocks: 4
; VGPRBlocks: 9
; NumSGPRsForWavesPerEU: 34
; NumVGPRsForWavesPerEU: 78
; Occupancy: 14
; WaveLimiterHint : 1
; COMPUTE_PGM_RSRC2:SCRATCH_EN: 0
; COMPUTE_PGM_RSRC2:USER_SGPR: 15
; COMPUTE_PGM_RSRC2:TRAP_HANDLER: 0
; COMPUTE_PGM_RSRC2:TGID_X_EN: 1
; COMPUTE_PGM_RSRC2:TGID_Y_EN: 0
; COMPUTE_PGM_RSRC2:TGID_Z_EN: 0
; COMPUTE_PGM_RSRC2:TIDIG_COMP_CNT: 0
	.section	.text._ZN9rocsparseL35bsrgeam_wf_per_row_multipass_kernelILj64ELj4E21rocsparse_complex_numIfEEEv20rocsparse_direction_iiiNS_24const_host_device_scalarIT1_EEPKiS8_PKS5_S6_S8_S8_SA_S8_PiPS5_21rocsparse_index_base_SD_SD_b,"axG",@progbits,_ZN9rocsparseL35bsrgeam_wf_per_row_multipass_kernelILj64ELj4E21rocsparse_complex_numIfEEEv20rocsparse_direction_iiiNS_24const_host_device_scalarIT1_EEPKiS8_PKS5_S6_S8_S8_SA_S8_PiPS5_21rocsparse_index_base_SD_SD_b,comdat
	.globl	_ZN9rocsparseL35bsrgeam_wf_per_row_multipass_kernelILj64ELj4E21rocsparse_complex_numIfEEEv20rocsparse_direction_iiiNS_24const_host_device_scalarIT1_EEPKiS8_PKS5_S6_S8_S8_SA_S8_PiPS5_21rocsparse_index_base_SD_SD_b ; -- Begin function _ZN9rocsparseL35bsrgeam_wf_per_row_multipass_kernelILj64ELj4E21rocsparse_complex_numIfEEEv20rocsparse_direction_iiiNS_24const_host_device_scalarIT1_EEPKiS8_PKS5_S6_S8_S8_SA_S8_PiPS5_21rocsparse_index_base_SD_SD_b
	.p2align	8
	.type	_ZN9rocsparseL35bsrgeam_wf_per_row_multipass_kernelILj64ELj4E21rocsparse_complex_numIfEEEv20rocsparse_direction_iiiNS_24const_host_device_scalarIT1_EEPKiS8_PKS5_S6_S8_S8_SA_S8_PiPS5_21rocsparse_index_base_SD_SD_b,@function
_ZN9rocsparseL35bsrgeam_wf_per_row_multipass_kernelILj64ELj4E21rocsparse_complex_numIfEEEv20rocsparse_direction_iiiNS_24const_host_device_scalarIT1_EEPKiS8_PKS5_S6_S8_S8_SA_S8_PiPS5_21rocsparse_index_base_SD_SD_b: ; @_ZN9rocsparseL35bsrgeam_wf_per_row_multipass_kernelILj64ELj4E21rocsparse_complex_numIfEEEv20rocsparse_direction_iiiNS_24const_host_device_scalarIT1_EEPKiS8_PKS5_S6_S8_S8_SA_S8_PiPS5_21rocsparse_index_base_SD_SD_b
; %bb.0:
	s_clause 0x2
	s_load_b128 s[4:7], s[0:1], 0x68
	s_load_b64 s[16:17], s[0:1], 0x10
	s_load_b64 s[18:19], s[0:1], 0x30
	s_waitcnt lgkmcnt(0)
	s_bitcmp1_b32 s7, 0
	s_mov_b32 s7, s16
	s_cselect_b32 s3, -1, 0
	s_delay_alu instid0(SALU_CYCLE_1)
	s_xor_b32 s2, s3, -1
	s_and_b32 vcc_lo, exec_lo, s3
	s_cbranch_vccnz .LBB20_4
; %bb.1:
	s_load_b32 s7, s[16:17], 0x0
	v_cndmask_b32_e64 v1, 0, 1, s2
	s_and_not1_b32 vcc_lo, exec_lo, s2
	s_cbranch_vccz .LBB20_5
.LBB20_2:
	s_delay_alu instid0(VALU_DEP_1)
	v_cmp_ne_u32_e32 vcc_lo, 1, v1
	s_mov_b32 s16, s18
	s_cbranch_vccnz .LBB20_6
.LBB20_3:
	s_load_b32 s16, s[18:19], 0x0
	s_load_b64 s[12:13], s[0:1], 0x18
	v_cmp_ne_u32_e32 vcc_lo, 1, v1
	s_cbranch_vccz .LBB20_7
	s_branch .LBB20_8
.LBB20_4:
	v_cndmask_b32_e64 v1, 0, 1, s2
	s_and_not1_b32 vcc_lo, exec_lo, s2
	s_cbranch_vccnz .LBB20_2
.LBB20_5:
	s_load_b32 s17, s[16:17], 0x4
	s_delay_alu instid0(VALU_DEP_1)
	v_cmp_ne_u32_e32 vcc_lo, 1, v1
	s_mov_b32 s16, s18
	s_cbranch_vccz .LBB20_3
.LBB20_6:
	s_load_b64 s[12:13], s[0:1], 0x18
	v_cmp_ne_u32_e32 vcc_lo, 1, v1
	s_cbranch_vccnz .LBB20_8
.LBB20_7:
	s_load_b32 s19, s[18:19], 0x4
.LBB20_8:
	s_load_b128 s[8:11], s[0:1], 0x0
	v_lshrrev_b32_e32 v8, 4, v0
	v_dual_mov_b32 v16, 0 :: v_dual_mov_b32 v1, 0
	s_delay_alu instid0(VALU_DEP_2) | instskip(NEXT) | instid1(VALU_DEP_1)
	v_lshl_or_b32 v6, s15, 2, v8
	v_ashrrev_i32_e32 v7, 31, v6
	s_waitcnt lgkmcnt(0)
	v_cmp_le_i32_e32 vcc_lo, s9, v6
	v_cmp_gt_i32_e64 s2, s9, v6
	s_delay_alu instid0(VALU_DEP_1)
	s_and_saveexec_b32 s9, s2
	s_cbranch_execz .LBB20_10
; %bb.9:
	v_lshlrev_b64 v[1:2], 2, v[6:7]
	s_delay_alu instid0(VALU_DEP_1) | instskip(NEXT) | instid1(VALU_DEP_1)
	v_add_co_u32 v1, s3, s12, v1
	v_add_co_ci_u32_e64 v2, s3, s13, v2, s3
	global_load_b32 v1, v[1:2], off
	s_waitcnt vmcnt(0)
	v_subrev_nc_u32_e32 v1, s4, v1
.LBB20_10:
	s_or_b32 exec_lo, exec_lo, s9
	s_load_b64 s[14:15], s[0:1], 0x38
	s_and_saveexec_b32 s9, s2
	s_cbranch_execz .LBB20_12
; %bb.11:
	v_lshlrev_b64 v[2:3], 2, v[6:7]
	s_delay_alu instid0(VALU_DEP_1) | instskip(NEXT) | instid1(VALU_DEP_1)
	v_add_co_u32 v2, s3, s12, v2
	v_add_co_ci_u32_e64 v3, s3, s13, v3, s3
	global_load_b32 v2, v[2:3], off offset:4
	s_waitcnt vmcnt(0)
	v_subrev_nc_u32_e32 v16, s4, v2
.LBB20_12:
	s_or_b32 exec_lo, exec_lo, s9
	v_mov_b32_e32 v17, 0
	v_mov_b32_e32 v3, 0
	s_and_saveexec_b32 s9, s2
	s_cbranch_execz .LBB20_14
; %bb.13:
	v_lshlrev_b64 v[2:3], 2, v[6:7]
	s_waitcnt lgkmcnt(0)
	s_delay_alu instid0(VALU_DEP_1) | instskip(NEXT) | instid1(VALU_DEP_1)
	v_add_co_u32 v2, s3, s14, v2
	v_add_co_ci_u32_e64 v3, s3, s15, v3, s3
	global_load_b32 v2, v[2:3], off
	s_waitcnt vmcnt(0)
	v_subrev_nc_u32_e32 v3, s5, v2
.LBB20_14:
	s_or_b32 exec_lo, exec_lo, s9
	s_and_saveexec_b32 s9, s2
	s_cbranch_execz .LBB20_16
; %bb.15:
	v_lshlrev_b64 v[4:5], 2, v[6:7]
	s_waitcnt lgkmcnt(0)
	s_delay_alu instid0(VALU_DEP_1) | instskip(NEXT) | instid1(VALU_DEP_1)
	v_add_co_u32 v4, s3, s14, v4
	v_add_co_ci_u32_e64 v5, s3, s15, v5, s3
	global_load_b32 v2, v[4:5], off offset:4
	s_waitcnt vmcnt(0)
	v_subrev_nc_u32_e32 v17, s5, v2
.LBB20_16:
	s_or_b32 exec_lo, exec_lo, s9
	s_load_b64 s[20:21], s[0:1], 0x20
	v_mov_b32_e32 v5, 0
	s_and_saveexec_b32 s3, s2
	s_cbranch_execz .LBB20_18
; %bb.17:
	s_load_b64 s[12:13], s[0:1], 0x50
	v_lshlrev_b64 v[4:5], 2, v[6:7]
	s_waitcnt lgkmcnt(0)
	s_delay_alu instid0(VALU_DEP_1) | instskip(NEXT) | instid1(VALU_DEP_1)
	v_add_co_u32 v4, s2, s12, v4
	v_add_co_ci_u32_e64 v5, s2, s13, v5, s2
	global_load_b32 v2, v[4:5], off
	s_waitcnt vmcnt(0)
	v_subrev_nc_u32_e32 v5, s6, v2
.LBB20_18:
	s_or_b32 exec_lo, exec_lo, s3
	s_load_b64 s[22:23], s[0:1], 0x40
	v_mov_b32_e32 v2, s10
	s_mov_b32 s3, exec_lo
	v_cmpx_lt_i32_e64 v1, v16
	s_cbranch_execz .LBB20_20
; %bb.19:
	v_ashrrev_i32_e32 v2, 31, v1
	s_delay_alu instid0(VALU_DEP_1) | instskip(SKIP_1) | instid1(VALU_DEP_1)
	v_lshlrev_b64 v[6:7], 2, v[1:2]
	s_waitcnt lgkmcnt(0)
	v_add_co_u32 v6, s2, s20, v6
	s_delay_alu instid0(VALU_DEP_1)
	v_add_co_ci_u32_e64 v7, s2, s21, v7, s2
	global_load_b32 v2, v[6:7], off
	s_waitcnt vmcnt(0)
	v_subrev_nc_u32_e32 v2, s4, v2
.LBB20_20:
	s_or_b32 exec_lo, exec_lo, s3
	v_mov_b32_e32 v4, s10
	s_mov_b32 s3, exec_lo
	v_cmpx_lt_i32_e64 v3, v17
	s_cbranch_execz .LBB20_22
; %bb.21:
	v_ashrrev_i32_e32 v4, 31, v3
	s_delay_alu instid0(VALU_DEP_1) | instskip(SKIP_1) | instid1(VALU_DEP_1)
	v_lshlrev_b64 v[6:7], 2, v[3:4]
	s_waitcnt lgkmcnt(0)
	v_add_co_u32 v6, s2, s22, v6
	s_delay_alu instid0(VALU_DEP_1)
	v_add_co_ci_u32_e64 v7, s2, s23, v7, s2
	global_load_b32 v4, v[6:7], off
	s_waitcnt vmcnt(0)
	v_subrev_nc_u32_e32 v4, s5, v4
.LBB20_22:
	s_or_b32 exec_lo, exec_lo, s3
	v_cndmask_b32_e64 v9, 0, 1, vcc_lo
	v_dual_mov_b32 v7, 0 :: v_dual_lshlrev_b32 v6, 2, v8
	ds_store_b32 v6, v9 offset:512
	s_waitcnt lgkmcnt(0)
	s_barrier
	buffer_gl0_inv
	ds_load_b32 v9, v7 offset:512
	s_waitcnt lgkmcnt(0)
	v_cmp_lt_u32_e32 vcc_lo, 3, v9
	s_cbranch_vccnz .LBB20_62
; %bb.23:
	v_bfe_u32 v9, v0, 2, 2
	v_dual_mov_b32 v25, 1 :: v_dual_and_b32 v10, 3, v0
	s_cmp_eq_u32 s8, 0
	s_clause 0x2
	s_load_b128 s[12:15], s[0:1], 0x58
	s_load_b64 s[24:25], s[0:1], 0x28
	s_load_b64 s[26:27], s[0:1], 0x48
	v_or_b32_e32 v18, 0x200, v6
	v_min_i32_e32 v26, v4, v2
	v_lshlrev_b32_e32 v4, 2, v9
	v_lshlrev_b32_e32 v6, 2, v10
	s_cselect_b32 vcc_lo, -1, 0
	v_dual_cndmask_b32 v11, v10, v9 :: v_dual_and_b32 v2, 48, v0
	v_lshl_or_b32 v19, v8, 2, 0x210
	v_max_i32_e32 v8, v9, v10
	v_lshlrev_b32_e32 v20, 3, v0
	s_delay_alu instid0(VALU_DEP_4)
	v_or3_b32 v4, v4, v2, v10
	v_or3_b32 v2, v6, v2, v9
	v_cmp_gt_u32_e64 s1, 2, v0
	v_cmp_gt_i32_e64 s0, s11, v8
	v_lshl_or_b32 v23, v0, 2, 0x200
	v_lshlrev_b32_e32 v21, 3, v4
	v_lshlrev_b32_e32 v22, 3, v2
	v_cmp_eq_u32_e64 s2, 0, v0
	v_cndmask_b32_e32 v0, v9, v10, vcc_lo
	v_mov_b32_e32 v8, v7
	s_cmp_lg_u32 s8, 0
	v_cndmask_b32_e32 v24, v21, v22, vcc_lo
	s_cselect_b32 s8, -1, 0
	s_mul_i32 s9, s11, s11
	s_branch .LBB20_25
.LBB20_24:                              ;   in Loop: Header=BB20_25 Depth=1
	s_or_b32 exec_lo, exec_lo, s3
	s_waitcnt lgkmcnt(0)
	s_barrier
	buffer_gl0_inv
	ds_load_b32 v4, v7 offset:512
	v_dual_mov_b32 v26, v2 :: v_dual_add_nc_u32 v5, 1, v5
	s_waitcnt lgkmcnt(0)
	v_cmp_gt_u32_e32 vcc_lo, 4, v4
	s_cbranch_vccz .LBB20_62
.LBB20_25:                              ; =>This Loop Header: Depth=1
                                        ;     Child Loop BB20_28 Depth 2
                                        ;     Child Loop BB20_43 Depth 2
	v_mov_b32_e32 v2, s10
	s_mov_b32 s18, exec_lo
	ds_store_b32 v19, v7
	ds_store_b64 v20, v[7:8]
	s_waitcnt lgkmcnt(0)
	s_barrier
	buffer_gl0_inv
	v_cmpx_lt_i32_e64 v1, v16
	s_cbranch_execz .LBB20_40
; %bb.26:                               ;   in Loop: Header=BB20_25 Depth=1
	v_mul_lo_u32 v4, s11, v1
	v_ashrrev_i32_e32 v2, 31, v1
	s_mov_b32 s28, 0
	s_mov_b32 s29, 0
	s_delay_alu instid0(VALU_DEP_1) | instskip(SKIP_1) | instid1(VALU_DEP_4)
	v_lshlrev_b64 v[27:28], 2, v[1:2]
	v_mov_b32_e32 v2, s10
	v_add_nc_u32_e32 v6, v10, v4
	v_add_nc_u32_e32 v4, v9, v4
	s_delay_alu instid0(VALU_DEP_2) | instskip(NEXT) | instid1(VALU_DEP_2)
	v_mad_u64_u32 v[12:13], null, s11, v6, v[9:10]
	v_mad_u64_u32 v[13:14], null, s11, v4, v[10:11]
	v_add_co_u32 v14, vcc_lo, s20, v27
	v_add_co_ci_u32_e32 v15, vcc_lo, s21, v28, vcc_lo
	s_branch .LBB20_28
.LBB20_27:                              ;   in Loop: Header=BB20_28 Depth=2
	s_or_b32 exec_lo, exec_lo, s30
	v_dual_mov_b32 v6, v1 :: v_dual_mov_b32 v1, v4
	s_and_b32 s3, exec_lo, s31
	s_delay_alu instid0(SALU_CYCLE_1) | instskip(NEXT) | instid1(SALU_CYCLE_1)
	s_or_b32 s28, s3, s28
	s_and_not1_b32 exec_lo, exec_lo, s28
	s_cbranch_execz .LBB20_39
.LBB20_28:                              ;   Parent Loop BB20_25 Depth=1
                                        ; =>  This Inner Loop Header: Depth=2
	global_load_b32 v4, v[14:15], off
	s_waitcnt vmcnt(0)
	v_subrev_nc_u32_e32 v4, s4, v4
	s_delay_alu instid0(VALU_DEP_1) | instskip(NEXT) | instid1(VALU_DEP_1)
	v_cmp_le_i32_e64 s3, v4, v26
	s_and_saveexec_b32 s30, s3
	s_delay_alu instid0(SALU_CYCLE_1)
	s_xor_b32 s30, exec_lo, s30
	s_cbranch_execz .LBB20_32
; %bb.29:                               ;   in Loop: Header=BB20_28 Depth=2
	ds_store_b32 v19, v25
	s_and_saveexec_b32 s31, s0
	s_cbranch_execz .LBB20_38
; %bb.30:                               ;   in Loop: Header=BB20_28 Depth=2
	s_and_b32 vcc_lo, exec_lo, s8
	s_cbranch_vccz .LBB20_36
; %bb.31:                               ;   in Loop: Header=BB20_28 Depth=2
	v_add_nc_u32_e32 v27, s29, v13
	s_delay_alu instid0(VALU_DEP_1) | instskip(NEXT) | instid1(VALU_DEP_1)
	v_ashrrev_i32_e32 v28, 31, v27
	v_lshlrev_b64 v[27:28], 3, v[27:28]
	s_delay_alu instid0(VALU_DEP_1) | instskip(NEXT) | instid1(VALU_DEP_2)
	v_add_co_u32 v27, vcc_lo, s24, v27
	v_add_co_ci_u32_e32 v28, vcc_lo, s25, v28, vcc_lo
	global_load_b64 v[27:28], v[27:28], off
	s_waitcnt vmcnt(0)
	v_mul_f32_e32 v30, s7, v28
	v_mul_f32_e64 v29, v28, -s17
	s_delay_alu instid0(VALU_DEP_2) | instskip(NEXT) | instid1(VALU_DEP_2)
	v_fmac_f32_e32 v30, s17, v27
	v_fmac_f32_e32 v29, s7, v27
	ds_store_b64 v21, v[29:30]
	s_cbranch_execz .LBB20_37
	s_branch .LBB20_38
.LBB20_32:                              ;   in Loop: Header=BB20_28 Depth=2
	s_and_not1_saveexec_b32 s30, s30
.LBB20_33:                              ;   in Loop: Header=BB20_28 Depth=2
	v_min_i32_e32 v2, v4, v2
.LBB20_34:                              ;   in Loop: Header=BB20_28 Depth=2
	s_or_b32 exec_lo, exec_lo, s30
	s_mov_b32 s31, -1
                                        ; implicit-def: $vgpr4
	s_and_saveexec_b32 s30, s3
	s_cbranch_execz .LBB20_27
; %bb.35:                               ;   in Loop: Header=BB20_28 Depth=2
	v_dual_mov_b32 v1, v16 :: v_dual_add_nc_u32 v4, 1, v1
	v_add_co_u32 v14, s3, v14, 4
	s_delay_alu instid0(VALU_DEP_1) | instskip(NEXT) | instid1(VALU_DEP_3)
	v_add_co_ci_u32_e64 v15, s3, 0, v15, s3
	v_cmp_ge_i32_e32 vcc_lo, v4, v16
	s_add_i32 s29, s29, s9
	s_or_not1_b32 s31, vcc_lo, exec_lo
	s_branch .LBB20_27
.LBB20_36:                              ;   in Loop: Header=BB20_28 Depth=2
.LBB20_37:                              ;   in Loop: Header=BB20_28 Depth=2
	v_add_nc_u32_e32 v27, s29, v12
	s_delay_alu instid0(VALU_DEP_1) | instskip(NEXT) | instid1(VALU_DEP_1)
	v_ashrrev_i32_e32 v28, 31, v27
	v_lshlrev_b64 v[27:28], 3, v[27:28]
	s_delay_alu instid0(VALU_DEP_1) | instskip(NEXT) | instid1(VALU_DEP_2)
	v_add_co_u32 v27, vcc_lo, s24, v27
	v_add_co_ci_u32_e32 v28, vcc_lo, s25, v28, vcc_lo
	global_load_b64 v[27:28], v[27:28], off
	s_waitcnt vmcnt(0)
	v_mul_f32_e64 v29, v28, -s17
	s_delay_alu instid0(VALU_DEP_1) | instskip(NEXT) | instid1(VALU_DEP_1)
	v_dual_mul_f32 v30, s7, v28 :: v_dual_fmac_f32 v29, s7, v27
	v_fmac_f32_e32 v30, s17, v27
	ds_store_b64 v22, v[29:30]
.LBB20_38:                              ;   in Loop: Header=BB20_28 Depth=2
	s_or_b32 exec_lo, exec_lo, s31
                                        ; implicit-def: $vgpr4
	s_and_not1_saveexec_b32 s30, s30
	s_cbranch_execz .LBB20_34
	s_branch .LBB20_33
.LBB20_39:                              ;   in Loop: Header=BB20_25 Depth=1
	s_or_b32 exec_lo, exec_lo, s28
	v_mov_b32_e32 v1, v6
.LBB20_40:                              ;   in Loop: Header=BB20_25 Depth=1
	s_or_b32 exec_lo, exec_lo, s18
	s_delay_alu instid0(SALU_CYCLE_1)
	s_mov_b32 s18, exec_lo
	s_waitcnt lgkmcnt(0)
	s_barrier
	buffer_gl0_inv
	v_cmpx_lt_i32_e64 v3, v17
	s_cbranch_execz .LBB20_55
; %bb.41:                               ;   in Loop: Header=BB20_25 Depth=1
	v_mul_lo_u32 v6, s11, v3
	v_ashrrev_i32_e32 v4, 31, v3
	s_mov_b32 s28, 0
	s_mov_b32 s29, 0
	s_delay_alu instid0(VALU_DEP_1) | instskip(NEXT) | instid1(VALU_DEP_3)
	v_lshlrev_b64 v[27:28], 2, v[3:4]
	v_add_nc_u32_e32 v14, v10, v6
	v_add_nc_u32_e32 v6, v9, v6
	s_delay_alu instid0(VALU_DEP_2) | instskip(NEXT) | instid1(VALU_DEP_2)
	v_mad_u64_u32 v[12:13], null, s11, v14, v[9:10]
	v_mad_u64_u32 v[13:14], null, s11, v6, v[10:11]
	v_add_co_u32 v14, vcc_lo, s22, v27
	v_add_co_ci_u32_e32 v15, vcc_lo, s23, v28, vcc_lo
	s_branch .LBB20_43
.LBB20_42:                              ;   in Loop: Header=BB20_43 Depth=2
	s_or_b32 exec_lo, exec_lo, s30
	v_dual_mov_b32 v6, v3 :: v_dual_mov_b32 v3, v4
	s_and_b32 s3, exec_lo, s31
	s_delay_alu instid0(SALU_CYCLE_1) | instskip(NEXT) | instid1(SALU_CYCLE_1)
	s_or_b32 s28, s3, s28
	s_and_not1_b32 exec_lo, exec_lo, s28
	s_cbranch_execz .LBB20_54
.LBB20_43:                              ;   Parent Loop BB20_25 Depth=1
                                        ; =>  This Inner Loop Header: Depth=2
	global_load_b32 v4, v[14:15], off
	s_waitcnt vmcnt(0)
	v_subrev_nc_u32_e32 v4, s5, v4
	s_delay_alu instid0(VALU_DEP_1) | instskip(NEXT) | instid1(VALU_DEP_1)
	v_cmp_le_i32_e64 s3, v4, v26
	s_and_saveexec_b32 s30, s3
	s_delay_alu instid0(SALU_CYCLE_1)
	s_xor_b32 s30, exec_lo, s30
	s_cbranch_execz .LBB20_47
; %bb.44:                               ;   in Loop: Header=BB20_43 Depth=2
	ds_store_b32 v19, v25
	s_and_saveexec_b32 s31, s0
	s_cbranch_execz .LBB20_53
; %bb.45:                               ;   in Loop: Header=BB20_43 Depth=2
	s_and_b32 vcc_lo, exec_lo, s8
	s_cbranch_vccz .LBB20_51
; %bb.46:                               ;   in Loop: Header=BB20_43 Depth=2
	v_add_nc_u32_e32 v27, s29, v13
	ds_load_b64 v[29:30], v21
	v_ashrrev_i32_e32 v28, 31, v27
	s_delay_alu instid0(VALU_DEP_1) | instskip(NEXT) | instid1(VALU_DEP_1)
	v_lshlrev_b64 v[27:28], 3, v[27:28]
	v_add_co_u32 v27, vcc_lo, s26, v27
	s_delay_alu instid0(VALU_DEP_2) | instskip(SKIP_4) | instid1(VALU_DEP_2)
	v_add_co_ci_u32_e32 v28, vcc_lo, s27, v28, vcc_lo
	global_load_b64 v[27:28], v[27:28], off
	s_waitcnt vmcnt(0) lgkmcnt(0)
	v_fma_f32 v4, s16, v27, v29
	v_fmac_f32_e32 v30, s19, v27
	v_fma_f32 v29, -s19, v28, v4
	s_delay_alu instid0(VALU_DEP_2)
	v_fmac_f32_e32 v30, s16, v28
	ds_store_b64 v21, v[29:30]
	s_cbranch_execz .LBB20_52
	s_branch .LBB20_53
.LBB20_47:                              ;   in Loop: Header=BB20_43 Depth=2
	s_and_not1_saveexec_b32 s30, s30
.LBB20_48:                              ;   in Loop: Header=BB20_43 Depth=2
	v_min_i32_e32 v2, v4, v2
.LBB20_49:                              ;   in Loop: Header=BB20_43 Depth=2
	s_or_b32 exec_lo, exec_lo, s30
	s_mov_b32 s31, -1
                                        ; implicit-def: $vgpr4
	s_and_saveexec_b32 s30, s3
	s_cbranch_execz .LBB20_42
; %bb.50:                               ;   in Loop: Header=BB20_43 Depth=2
	v_dual_mov_b32 v3, v17 :: v_dual_add_nc_u32 v4, 1, v3
	v_add_co_u32 v14, s3, v14, 4
	s_delay_alu instid0(VALU_DEP_1) | instskip(NEXT) | instid1(VALU_DEP_3)
	v_add_co_ci_u32_e64 v15, s3, 0, v15, s3
	v_cmp_ge_i32_e32 vcc_lo, v4, v17
	s_add_i32 s29, s29, s9
	s_or_not1_b32 s31, vcc_lo, exec_lo
	s_branch .LBB20_42
.LBB20_51:                              ;   in Loop: Header=BB20_43 Depth=2
.LBB20_52:                              ;   in Loop: Header=BB20_43 Depth=2
	v_add_nc_u32_e32 v27, s29, v12
	ds_load_b64 v[29:30], v22
	v_ashrrev_i32_e32 v28, 31, v27
	s_delay_alu instid0(VALU_DEP_1) | instskip(NEXT) | instid1(VALU_DEP_1)
	v_lshlrev_b64 v[27:28], 3, v[27:28]
	v_add_co_u32 v27, vcc_lo, s26, v27
	s_delay_alu instid0(VALU_DEP_2) | instskip(SKIP_4) | instid1(VALU_DEP_2)
	v_add_co_ci_u32_e32 v28, vcc_lo, s27, v28, vcc_lo
	global_load_b64 v[27:28], v[27:28], off
	s_waitcnt vmcnt(0) lgkmcnt(0)
	v_fma_f32 v4, s16, v27, v29
	v_fmac_f32_e32 v30, s19, v27
	v_fma_f32 v29, -s19, v28, v4
	s_delay_alu instid0(VALU_DEP_2)
	v_fmac_f32_e32 v30, s16, v28
	ds_store_b64 v22, v[29:30]
.LBB20_53:                              ;   in Loop: Header=BB20_43 Depth=2
	s_or_b32 exec_lo, exec_lo, s31
                                        ; implicit-def: $vgpr4
	s_and_not1_saveexec_b32 s30, s30
	s_cbranch_execz .LBB20_49
	s_branch .LBB20_48
.LBB20_54:                              ;   in Loop: Header=BB20_25 Depth=1
	s_or_b32 exec_lo, exec_lo, s28
	v_mov_b32_e32 v3, v6
.LBB20_55:                              ;   in Loop: Header=BB20_25 Depth=1
	s_or_b32 exec_lo, exec_lo, s18
	s_waitcnt lgkmcnt(0)
	s_barrier
	buffer_gl0_inv
	ds_load_b32 v4, v19
	s_mov_b32 s3, exec_lo
	s_waitcnt lgkmcnt(0)
	v_cmpx_ne_u32_e32 0, v4
	s_cbranch_execz .LBB20_58
; %bb.56:                               ;   in Loop: Header=BB20_25 Depth=1
	v_ashrrev_i32_e32 v6, 31, v5
	v_add_nc_u32_e32 v4, s6, v26
	s_delay_alu instid0(VALU_DEP_2) | instskip(NEXT) | instid1(VALU_DEP_1)
	v_lshlrev_b64 v[12:13], 2, v[5:6]
	v_add_co_u32 v12, vcc_lo, s12, v12
	s_delay_alu instid0(VALU_DEP_2)
	v_add_co_ci_u32_e32 v13, vcc_lo, s13, v13, vcc_lo
	global_store_b32 v[12:13], v4, off
	s_and_b32 exec_lo, exec_lo, s0
	s_cbranch_execz .LBB20_58
; %bb.57:                               ;   in Loop: Header=BB20_25 Depth=1
	v_mad_u64_u32 v[12:13], null, v5, s11, v[0:1]
	ds_load_b64 v[26:27], v24
	v_mad_u64_u32 v[13:14], null, v12, s11, v[11:12]
	s_delay_alu instid0(VALU_DEP_1) | instskip(NEXT) | instid1(VALU_DEP_1)
	v_ashrrev_i32_e32 v14, 31, v13
	v_lshlrev_b64 v[12:13], 3, v[13:14]
	s_delay_alu instid0(VALU_DEP_1) | instskip(NEXT) | instid1(VALU_DEP_2)
	v_add_co_u32 v12, vcc_lo, s14, v12
	v_add_co_ci_u32_e32 v13, vcc_lo, s15, v13, vcc_lo
	s_waitcnt lgkmcnt(0)
	global_store_b64 v[12:13], v[26:27], off
.LBB20_58:                              ;   in Loop: Header=BB20_25 Depth=1
	s_or_b32 exec_lo, exec_lo, s3
	v_cmp_le_i32_e32 vcc_lo, s10, v2
	s_waitcnt_vscnt null, 0x0
	s_barrier
	buffer_gl0_inv
	v_cndmask_b32_e64 v4, 0, 1, vcc_lo
	s_barrier
	buffer_gl0_inv
	ds_store_b32 v18, v4
	s_waitcnt lgkmcnt(0)
	s_barrier
	buffer_gl0_inv
	s_and_saveexec_b32 s3, s1
	s_cbranch_execz .LBB20_60
; %bb.59:                               ;   in Loop: Header=BB20_25 Depth=1
	ds_load_2addr_b32 v[12:13], v23 offset1:2
	s_waitcnt lgkmcnt(0)
	v_add_nc_u32_e32 v4, v13, v12
	ds_store_b32 v23, v4
.LBB20_60:                              ;   in Loop: Header=BB20_25 Depth=1
	s_or_b32 exec_lo, exec_lo, s3
	s_waitcnt lgkmcnt(0)
	s_barrier
	buffer_gl0_inv
	s_and_saveexec_b32 s3, s2
	s_cbranch_execz .LBB20_24
; %bb.61:                               ;   in Loop: Header=BB20_25 Depth=1
	ds_load_b64 v[12:13], v7 offset:512
	s_waitcnt lgkmcnt(0)
	v_add_nc_u32_e32 v4, v13, v12
	ds_store_b32 v7, v4 offset:512
	s_branch .LBB20_24
.LBB20_62:
	s_endpgm
	.section	.rodata,"a",@progbits
	.p2align	6, 0x0
	.amdhsa_kernel _ZN9rocsparseL35bsrgeam_wf_per_row_multipass_kernelILj64ELj4E21rocsparse_complex_numIfEEEv20rocsparse_direction_iiiNS_24const_host_device_scalarIT1_EEPKiS8_PKS5_S6_S8_S8_SA_S8_PiPS5_21rocsparse_index_base_SD_SD_b
		.amdhsa_group_segment_fixed_size 544
		.amdhsa_private_segment_fixed_size 0
		.amdhsa_kernarg_size 120
		.amdhsa_user_sgpr_count 15
		.amdhsa_user_sgpr_dispatch_ptr 0
		.amdhsa_user_sgpr_queue_ptr 0
		.amdhsa_user_sgpr_kernarg_segment_ptr 1
		.amdhsa_user_sgpr_dispatch_id 0
		.amdhsa_user_sgpr_private_segment_size 0
		.amdhsa_wavefront_size32 1
		.amdhsa_uses_dynamic_stack 0
		.amdhsa_enable_private_segment 0
		.amdhsa_system_sgpr_workgroup_id_x 1
		.amdhsa_system_sgpr_workgroup_id_y 0
		.amdhsa_system_sgpr_workgroup_id_z 0
		.amdhsa_system_sgpr_workgroup_info 0
		.amdhsa_system_vgpr_workitem_id 0
		.amdhsa_next_free_vgpr 31
		.amdhsa_next_free_sgpr 32
		.amdhsa_reserve_vcc 1
		.amdhsa_float_round_mode_32 0
		.amdhsa_float_round_mode_16_64 0
		.amdhsa_float_denorm_mode_32 3
		.amdhsa_float_denorm_mode_16_64 3
		.amdhsa_dx10_clamp 1
		.amdhsa_ieee_mode 1
		.amdhsa_fp16_overflow 0
		.amdhsa_workgroup_processor_mode 1
		.amdhsa_memory_ordered 1
		.amdhsa_forward_progress 0
		.amdhsa_shared_vgpr_count 0
		.amdhsa_exception_fp_ieee_invalid_op 0
		.amdhsa_exception_fp_denorm_src 0
		.amdhsa_exception_fp_ieee_div_zero 0
		.amdhsa_exception_fp_ieee_overflow 0
		.amdhsa_exception_fp_ieee_underflow 0
		.amdhsa_exception_fp_ieee_inexact 0
		.amdhsa_exception_int_div_zero 0
	.end_amdhsa_kernel
	.section	.text._ZN9rocsparseL35bsrgeam_wf_per_row_multipass_kernelILj64ELj4E21rocsparse_complex_numIfEEEv20rocsparse_direction_iiiNS_24const_host_device_scalarIT1_EEPKiS8_PKS5_S6_S8_S8_SA_S8_PiPS5_21rocsparse_index_base_SD_SD_b,"axG",@progbits,_ZN9rocsparseL35bsrgeam_wf_per_row_multipass_kernelILj64ELj4E21rocsparse_complex_numIfEEEv20rocsparse_direction_iiiNS_24const_host_device_scalarIT1_EEPKiS8_PKS5_S6_S8_S8_SA_S8_PiPS5_21rocsparse_index_base_SD_SD_b,comdat
.Lfunc_end20:
	.size	_ZN9rocsparseL35bsrgeam_wf_per_row_multipass_kernelILj64ELj4E21rocsparse_complex_numIfEEEv20rocsparse_direction_iiiNS_24const_host_device_scalarIT1_EEPKiS8_PKS5_S6_S8_S8_SA_S8_PiPS5_21rocsparse_index_base_SD_SD_b, .Lfunc_end20-_ZN9rocsparseL35bsrgeam_wf_per_row_multipass_kernelILj64ELj4E21rocsparse_complex_numIfEEEv20rocsparse_direction_iiiNS_24const_host_device_scalarIT1_EEPKiS8_PKS5_S6_S8_S8_SA_S8_PiPS5_21rocsparse_index_base_SD_SD_b
                                        ; -- End function
	.section	.AMDGPU.csdata,"",@progbits
; Kernel info:
; codeLenInByte = 2360
; NumSgprs: 34
; NumVgprs: 31
; ScratchSize: 0
; MemoryBound: 0
; FloatMode: 240
; IeeeMode: 1
; LDSByteSize: 544 bytes/workgroup (compile time only)
; SGPRBlocks: 4
; VGPRBlocks: 3
; NumSGPRsForWavesPerEU: 34
; NumVGPRsForWavesPerEU: 31
; Occupancy: 16
; WaveLimiterHint : 0
; COMPUTE_PGM_RSRC2:SCRATCH_EN: 0
; COMPUTE_PGM_RSRC2:USER_SGPR: 15
; COMPUTE_PGM_RSRC2:TRAP_HANDLER: 0
; COMPUTE_PGM_RSRC2:TGID_X_EN: 1
; COMPUTE_PGM_RSRC2:TGID_Y_EN: 0
; COMPUTE_PGM_RSRC2:TGID_Z_EN: 0
; COMPUTE_PGM_RSRC2:TIDIG_COMP_CNT: 0
	.section	.text._ZN9rocsparseL35bsrgeam_wf_per_row_multipass_kernelILj64ELj8E21rocsparse_complex_numIfEEEv20rocsparse_direction_iiiNS_24const_host_device_scalarIT1_EEPKiS8_PKS5_S6_S8_S8_SA_S8_PiPS5_21rocsparse_index_base_SD_SD_b,"axG",@progbits,_ZN9rocsparseL35bsrgeam_wf_per_row_multipass_kernelILj64ELj8E21rocsparse_complex_numIfEEEv20rocsparse_direction_iiiNS_24const_host_device_scalarIT1_EEPKiS8_PKS5_S6_S8_S8_SA_S8_PiPS5_21rocsparse_index_base_SD_SD_b,comdat
	.globl	_ZN9rocsparseL35bsrgeam_wf_per_row_multipass_kernelILj64ELj8E21rocsparse_complex_numIfEEEv20rocsparse_direction_iiiNS_24const_host_device_scalarIT1_EEPKiS8_PKS5_S6_S8_S8_SA_S8_PiPS5_21rocsparse_index_base_SD_SD_b ; -- Begin function _ZN9rocsparseL35bsrgeam_wf_per_row_multipass_kernelILj64ELj8E21rocsparse_complex_numIfEEEv20rocsparse_direction_iiiNS_24const_host_device_scalarIT1_EEPKiS8_PKS5_S6_S8_S8_SA_S8_PiPS5_21rocsparse_index_base_SD_SD_b
	.p2align	8
	.type	_ZN9rocsparseL35bsrgeam_wf_per_row_multipass_kernelILj64ELj8E21rocsparse_complex_numIfEEEv20rocsparse_direction_iiiNS_24const_host_device_scalarIT1_EEPKiS8_PKS5_S6_S8_S8_SA_S8_PiPS5_21rocsparse_index_base_SD_SD_b,@function
_ZN9rocsparseL35bsrgeam_wf_per_row_multipass_kernelILj64ELj8E21rocsparse_complex_numIfEEEv20rocsparse_direction_iiiNS_24const_host_device_scalarIT1_EEPKiS8_PKS5_S6_S8_S8_SA_S8_PiPS5_21rocsparse_index_base_SD_SD_b: ; @_ZN9rocsparseL35bsrgeam_wf_per_row_multipass_kernelILj64ELj8E21rocsparse_complex_numIfEEEv20rocsparse_direction_iiiNS_24const_host_device_scalarIT1_EEPKiS8_PKS5_S6_S8_S8_SA_S8_PiPS5_21rocsparse_index_base_SD_SD_b
; %bb.0:
	s_clause 0x2
	s_load_b128 s[4:7], s[0:1], 0x68
	s_load_b64 s[2:3], s[0:1], 0x10
	s_load_b64 s[16:17], s[0:1], 0x30
	s_waitcnt lgkmcnt(0)
	s_bitcmp1_b32 s7, 0
	s_cselect_b32 s7, -1, 0
	s_delay_alu instid0(SALU_CYCLE_1)
	s_xor_b32 s8, s7, -1
	s_and_b32 vcc_lo, exec_lo, s7
	s_mov_b32 s7, s2
	s_cbranch_vccnz .LBB21_4
; %bb.1:
	s_load_b32 s7, s[2:3], 0x0
	v_cndmask_b32_e64 v1, 0, 1, s8
	s_and_not1_b32 vcc_lo, exec_lo, s8
	s_cbranch_vccz .LBB21_5
.LBB21_2:
	s_delay_alu instid0(VALU_DEP_1)
	v_cmp_ne_u32_e32 vcc_lo, 1, v1
	s_mov_b32 s2, s16
	s_cbranch_vccnz .LBB21_6
.LBB21_3:
	s_load_b32 s2, s[16:17], 0x0
	s_load_b64 s[12:13], s[0:1], 0x18
	v_cmp_ne_u32_e32 vcc_lo, 1, v1
	s_cbranch_vccz .LBB21_7
	s_branch .LBB21_8
.LBB21_4:
	v_cndmask_b32_e64 v1, 0, 1, s8
	s_and_not1_b32 vcc_lo, exec_lo, s8
	s_cbranch_vccnz .LBB21_2
.LBB21_5:
	s_load_b32 s3, s[2:3], 0x4
	s_delay_alu instid0(VALU_DEP_1)
	v_cmp_ne_u32_e32 vcc_lo, 1, v1
	s_mov_b32 s2, s16
	s_cbranch_vccz .LBB21_3
.LBB21_6:
	s_load_b64 s[12:13], s[0:1], 0x18
	v_cmp_ne_u32_e32 vcc_lo, 1, v1
	s_cbranch_vccnz .LBB21_8
.LBB21_7:
	s_load_b32 s17, s[16:17], 0x4
.LBB21_8:
	s_load_b128 s[8:11], s[0:1], 0x0
	v_dual_mov_b32 v4, s15 :: v_dual_mov_b32 v1, 0
	v_mov_b32_e32 v16, 0
	s_waitcnt lgkmcnt(0)
	s_cmp_ge_i32 s15, s9
	s_cselect_b32 s14, -1, 0
	s_cmp_lt_i32 s15, s9
	s_cselect_b32 s9, -1, 0
	s_delay_alu instid0(SALU_CYCLE_1)
	s_and_saveexec_b32 s16, s9
	s_cbranch_execz .LBB21_10
; %bb.9:
	v_ashrrev_i32_e64 v5, 31, s15
	s_delay_alu instid0(VALU_DEP_1) | instskip(NEXT) | instid1(VALU_DEP_1)
	v_lshlrev_b64 v[1:2], 2, v[4:5]
	v_add_co_u32 v1, vcc_lo, s12, v1
	s_delay_alu instid0(VALU_DEP_2)
	v_add_co_ci_u32_e32 v2, vcc_lo, s13, v2, vcc_lo
	global_load_b32 v1, v[1:2], off
	s_waitcnt vmcnt(0)
	v_subrev_nc_u32_e32 v1, s4, v1
.LBB21_10:
	s_or_b32 exec_lo, exec_lo, s16
	s_load_b64 s[18:19], s[0:1], 0x38
	s_and_saveexec_b32 s16, s9
	s_cbranch_execz .LBB21_12
; %bb.11:
	v_ashrrev_i32_e64 v5, 31, s15
	s_delay_alu instid0(VALU_DEP_1) | instskip(NEXT) | instid1(VALU_DEP_1)
	v_lshlrev_b64 v[2:3], 2, v[4:5]
	v_add_co_u32 v2, vcc_lo, s12, v2
	s_delay_alu instid0(VALU_DEP_2)
	v_add_co_ci_u32_e32 v3, vcc_lo, s13, v3, vcc_lo
	global_load_b32 v2, v[2:3], off offset:4
	s_waitcnt vmcnt(0)
	v_subrev_nc_u32_e32 v16, s4, v2
.LBB21_12:
	s_or_b32 exec_lo, exec_lo, s16
	v_mov_b32_e32 v17, 0
	v_mov_b32_e32 v3, 0
	s_and_saveexec_b32 s12, s9
	s_cbranch_execz .LBB21_14
; %bb.13:
	v_ashrrev_i32_e64 v5, 31, s15
	s_delay_alu instid0(VALU_DEP_1) | instskip(SKIP_1) | instid1(VALU_DEP_1)
	v_lshlrev_b64 v[2:3], 2, v[4:5]
	s_waitcnt lgkmcnt(0)
	v_add_co_u32 v2, vcc_lo, s18, v2
	s_delay_alu instid0(VALU_DEP_2)
	v_add_co_ci_u32_e32 v3, vcc_lo, s19, v3, vcc_lo
	global_load_b32 v2, v[2:3], off
	s_waitcnt vmcnt(0)
	v_subrev_nc_u32_e32 v3, s5, v2
.LBB21_14:
	s_or_b32 exec_lo, exec_lo, s12
	s_and_saveexec_b32 s12, s9
	s_cbranch_execz .LBB21_16
; %bb.15:
	v_ashrrev_i32_e64 v5, 31, s15
	s_delay_alu instid0(VALU_DEP_1) | instskip(SKIP_1) | instid1(VALU_DEP_1)
	v_lshlrev_b64 v[5:6], 2, v[4:5]
	s_waitcnt lgkmcnt(0)
	v_add_co_u32 v5, vcc_lo, s18, v5
	s_delay_alu instid0(VALU_DEP_2)
	v_add_co_ci_u32_e32 v6, vcc_lo, s19, v6, vcc_lo
	global_load_b32 v2, v[5:6], off offset:4
	s_waitcnt vmcnt(0)
	v_subrev_nc_u32_e32 v17, s5, v2
.LBB21_16:
	s_or_b32 exec_lo, exec_lo, s12
	s_waitcnt lgkmcnt(0)
	s_load_b64 s[18:19], s[0:1], 0x20
	v_mov_b32_e32 v5, 0
	s_and_saveexec_b32 s12, s9
	s_cbranch_execz .LBB21_18
; %bb.17:
	s_load_b64 s[20:21], s[0:1], 0x50
	v_ashrrev_i32_e64 v5, 31, s15
	s_delay_alu instid0(VALU_DEP_1) | instskip(SKIP_1) | instid1(VALU_DEP_1)
	v_lshlrev_b64 v[4:5], 2, v[4:5]
	s_waitcnt lgkmcnt(0)
	v_add_co_u32 v4, vcc_lo, s20, v4
	s_delay_alu instid0(VALU_DEP_2)
	v_add_co_ci_u32_e32 v5, vcc_lo, s21, v5, vcc_lo
	global_load_b32 v2, v[4:5], off
	s_waitcnt vmcnt(0)
	v_subrev_nc_u32_e32 v5, s6, v2
.LBB21_18:
	s_or_b32 exec_lo, exec_lo, s12
	s_load_b64 s[20:21], s[0:1], 0x40
	v_mov_b32_e32 v2, s10
	s_mov_b32 s9, exec_lo
	v_cmpx_lt_i32_e64 v1, v16
	s_cbranch_execz .LBB21_20
; %bb.19:
	v_ashrrev_i32_e32 v2, 31, v1
	s_delay_alu instid0(VALU_DEP_1) | instskip(SKIP_1) | instid1(VALU_DEP_1)
	v_lshlrev_b64 v[6:7], 2, v[1:2]
	s_waitcnt lgkmcnt(0)
	v_add_co_u32 v6, vcc_lo, s18, v6
	s_delay_alu instid0(VALU_DEP_2)
	v_add_co_ci_u32_e32 v7, vcc_lo, s19, v7, vcc_lo
	global_load_b32 v2, v[6:7], off
	s_waitcnt vmcnt(0)
	v_subrev_nc_u32_e32 v2, s4, v2
.LBB21_20:
	s_or_b32 exec_lo, exec_lo, s9
	v_mov_b32_e32 v4, s10
	s_mov_b32 s9, exec_lo
	v_cmpx_lt_i32_e64 v3, v17
	s_cbranch_execz .LBB21_22
; %bb.21:
	v_ashrrev_i32_e32 v4, 31, v3
	s_delay_alu instid0(VALU_DEP_1) | instskip(SKIP_1) | instid1(VALU_DEP_1)
	v_lshlrev_b64 v[6:7], 2, v[3:4]
	s_waitcnt lgkmcnt(0)
	v_add_co_u32 v6, vcc_lo, s20, v6
	s_delay_alu instid0(VALU_DEP_2)
	v_add_co_ci_u32_e32 v7, vcc_lo, s21, v7, vcc_lo
	global_load_b32 v4, v[6:7], off
	s_waitcnt vmcnt(0)
	v_subrev_nc_u32_e32 v4, s5, v4
.LBB21_22:
	s_or_b32 exec_lo, exec_lo, s9
	v_cndmask_b32_e64 v6, 0, 1, s14
	v_mov_b32_e32 v7, 0
	ds_store_b32 v7, v6 offset:512
	s_waitcnt lgkmcnt(0)
	s_barrier
	buffer_gl0_inv
	ds_load_b32 v6, v7 offset:512
	s_waitcnt lgkmcnt(0)
	v_cmp_ne_u32_e32 vcc_lo, 0, v6
	s_cbranch_vccz .LBB21_24
.LBB21_23:
	s_endpgm
.LBB21_24:
	s_load_b128 s[12:15], s[0:1], 0x58
	v_dual_mov_b32 v18, 0x200 :: v_dual_and_b32 v9, 7, v0
	v_dual_mov_b32 v19, 0x204 :: v_dual_and_b32 v6, 56, v0
	s_clause 0x1
	s_load_b64 s[22:23], s[0:1], 0x28
	s_load_b64 s[24:25], s[0:1], 0x48
	v_lshrrev_b32_e32 v10, 3, v0
	v_min_i32_e32 v2, v4, v2
	v_or_b32_e32 v4, v6, v9
	s_cmp_eq_u32 s8, 0
	v_lshl_or_b32 v22, v9, 6, v6
	v_max_i32_e32 v8, v10, v9
	s_cselect_b32 vcc_lo, -1, 0
	v_lshlrev_b32_e32 v21, 3, v4
	v_dual_cndmask_b32 v11, v9, v10 :: v_dual_lshlrev_b32 v20, 3, v0
	s_delay_alu instid0(VALU_DEP_3) | instskip(NEXT) | instid1(VALU_DEP_3)
	v_cmp_gt_i32_e64 s0, s11, v8
	v_dual_cndmask_b32 v0, v10, v9 :: v_dual_cndmask_b32 v23, v21, v22
	v_mov_b32_e32 v8, v7
	v_mov_b32_e32 v24, 1
	s_cmp_lg_u32 s8, 0
	s_mul_i32 s9, s11, s11
	s_cselect_b32 s8, -1, 0
	s_branch .LBB21_26
.LBB21_25:                              ;   in Loop: Header=BB21_26 Depth=1
	s_or_b32 exec_lo, exec_lo, s1
	v_cmp_le_i32_e32 vcc_lo, s10, v2
	s_waitcnt_vscnt null, 0x0
	s_barrier
	buffer_gl0_inv
	v_cndmask_b32_e64 v4, 0, 1, vcc_lo
	s_barrier
	buffer_gl0_inv
	v_add_nc_u32_e32 v5, 1, v5
	ds_store_b32 v18, v4
	s_waitcnt lgkmcnt(0)
	s_barrier
	buffer_gl0_inv
	ds_load_b32 v4, v7 offset:512
	s_waitcnt lgkmcnt(0)
	v_cmp_eq_u32_e32 vcc_lo, 0, v4
	s_cbranch_vccz .LBB21_23
.LBB21_26:                              ; =>This Loop Header: Depth=1
                                        ;     Child Loop BB21_29 Depth 2
                                        ;     Child Loop BB21_44 Depth 2
	v_dual_mov_b32 v25, v2 :: v_dual_mov_b32 v2, s10
	s_mov_b32 s16, exec_lo
	ds_store_b32 v19, v7
	ds_store_b64 v20, v[7:8]
	s_waitcnt lgkmcnt(0)
	s_barrier
	buffer_gl0_inv
	v_cmpx_lt_i32_e64 v1, v16
	s_cbranch_execz .LBB21_41
; %bb.27:                               ;   in Loop: Header=BB21_26 Depth=1
	v_mul_lo_u32 v4, s11, v1
	v_ashrrev_i32_e32 v2, 31, v1
	s_mov_b32 s26, 0
	s_mov_b32 s27, 0
	s_delay_alu instid0(VALU_DEP_1) | instskip(SKIP_1) | instid1(VALU_DEP_4)
	v_lshlrev_b64 v[26:27], 2, v[1:2]
	v_mov_b32_e32 v2, s10
	v_add_nc_u32_e32 v6, v9, v4
	v_add_nc_u32_e32 v4, v10, v4
	s_delay_alu instid0(VALU_DEP_2) | instskip(NEXT) | instid1(VALU_DEP_2)
	v_mad_u64_u32 v[12:13], null, s11, v6, v[10:11]
	v_mad_u64_u32 v[13:14], null, s11, v4, v[9:10]
	v_add_co_u32 v14, vcc_lo, s18, v26
	v_add_co_ci_u32_e32 v15, vcc_lo, s19, v27, vcc_lo
	s_branch .LBB21_29
.LBB21_28:                              ;   in Loop: Header=BB21_29 Depth=2
	s_or_b32 exec_lo, exec_lo, s28
	v_dual_mov_b32 v6, v1 :: v_dual_mov_b32 v1, v4
	s_and_b32 s1, exec_lo, s29
	s_delay_alu instid0(SALU_CYCLE_1) | instskip(NEXT) | instid1(SALU_CYCLE_1)
	s_or_b32 s26, s1, s26
	s_and_not1_b32 exec_lo, exec_lo, s26
	s_cbranch_execz .LBB21_40
.LBB21_29:                              ;   Parent Loop BB21_26 Depth=1
                                        ; =>  This Inner Loop Header: Depth=2
	global_load_b32 v4, v[14:15], off
	s_waitcnt vmcnt(0)
	v_subrev_nc_u32_e32 v4, s4, v4
	s_delay_alu instid0(VALU_DEP_1) | instskip(NEXT) | instid1(VALU_DEP_1)
	v_cmp_le_i32_e64 s1, v4, v25
	s_and_saveexec_b32 s28, s1
	s_delay_alu instid0(SALU_CYCLE_1)
	s_xor_b32 s28, exec_lo, s28
	s_cbranch_execz .LBB21_35
; %bb.30:                               ;   in Loop: Header=BB21_29 Depth=2
	ds_store_b32 v19, v24
	s_and_saveexec_b32 s29, s0
	s_cbranch_execz .LBB21_34
; %bb.31:                               ;   in Loop: Header=BB21_29 Depth=2
	s_and_b32 vcc_lo, exec_lo, s8
	s_cbranch_vccz .LBB21_39
; %bb.32:                               ;   in Loop: Header=BB21_29 Depth=2
	v_add_nc_u32_e32 v26, s27, v13
	s_delay_alu instid0(VALU_DEP_1) | instskip(NEXT) | instid1(VALU_DEP_1)
	v_ashrrev_i32_e32 v27, 31, v26
	v_lshlrev_b64 v[26:27], 3, v[26:27]
	s_delay_alu instid0(VALU_DEP_1) | instskip(NEXT) | instid1(VALU_DEP_2)
	v_add_co_u32 v26, vcc_lo, s22, v26
	v_add_co_ci_u32_e32 v27, vcc_lo, s23, v27, vcc_lo
	global_load_b64 v[26:27], v[26:27], off
	s_waitcnt vmcnt(0)
	v_mul_f32_e32 v29, s7, v27
	v_mul_f32_e64 v28, v27, -s3
	s_delay_alu instid0(VALU_DEP_2) | instskip(NEXT) | instid1(VALU_DEP_2)
	v_fmac_f32_e32 v29, s3, v26
	v_fmac_f32_e32 v28, s7, v26
	ds_store_b64 v21, v[28:29]
	s_cbranch_execnz .LBB21_34
.LBB21_33:                              ;   in Loop: Header=BB21_29 Depth=2
	v_add_nc_u32_e32 v26, s27, v12
	s_delay_alu instid0(VALU_DEP_1) | instskip(NEXT) | instid1(VALU_DEP_1)
	v_ashrrev_i32_e32 v27, 31, v26
	v_lshlrev_b64 v[26:27], 3, v[26:27]
	s_delay_alu instid0(VALU_DEP_1) | instskip(NEXT) | instid1(VALU_DEP_2)
	v_add_co_u32 v26, vcc_lo, s22, v26
	v_add_co_ci_u32_e32 v27, vcc_lo, s23, v27, vcc_lo
	global_load_b64 v[26:27], v[26:27], off
	s_waitcnt vmcnt(0)
	v_mul_f32_e32 v29, s7, v27
	v_mul_f32_e64 v28, v27, -s3
	s_delay_alu instid0(VALU_DEP_2) | instskip(NEXT) | instid1(VALU_DEP_2)
	v_fmac_f32_e32 v29, s3, v26
	v_fmac_f32_e32 v28, s7, v26
	ds_store_b64 v22, v[28:29]
.LBB21_34:                              ;   in Loop: Header=BB21_29 Depth=2
	s_or_b32 exec_lo, exec_lo, s29
                                        ; implicit-def: $vgpr4
	s_and_not1_saveexec_b32 s28, s28
	s_branch .LBB21_36
.LBB21_35:                              ;   in Loop: Header=BB21_29 Depth=2
	s_and_not1_saveexec_b32 s28, s28
.LBB21_36:                              ;   in Loop: Header=BB21_29 Depth=2
	v_min_i32_e32 v2, v4, v2
; %bb.37:                               ;   in Loop: Header=BB21_29 Depth=2
	s_or_b32 exec_lo, exec_lo, s28
	s_mov_b32 s29, -1
                                        ; implicit-def: $vgpr4
	s_and_saveexec_b32 s28, s1
	s_cbranch_execz .LBB21_28
; %bb.38:                               ;   in Loop: Header=BB21_29 Depth=2
	v_dual_mov_b32 v1, v16 :: v_dual_add_nc_u32 v4, 1, v1
	v_add_co_u32 v14, s1, v14, 4
	s_delay_alu instid0(VALU_DEP_1) | instskip(NEXT) | instid1(VALU_DEP_3)
	v_add_co_ci_u32_e64 v15, s1, 0, v15, s1
	v_cmp_ge_i32_e32 vcc_lo, v4, v16
	s_add_i32 s27, s27, s9
	s_or_not1_b32 s29, vcc_lo, exec_lo
	s_branch .LBB21_28
.LBB21_39:                              ;   in Loop: Header=BB21_29 Depth=2
	s_branch .LBB21_33
.LBB21_40:                              ;   in Loop: Header=BB21_26 Depth=1
	s_or_b32 exec_lo, exec_lo, s26
	v_mov_b32_e32 v1, v6
.LBB21_41:                              ;   in Loop: Header=BB21_26 Depth=1
	s_or_b32 exec_lo, exec_lo, s16
	s_delay_alu instid0(SALU_CYCLE_1)
	s_mov_b32 s16, exec_lo
	s_waitcnt lgkmcnt(0)
	s_barrier
	buffer_gl0_inv
	v_cmpx_lt_i32_e64 v3, v17
	s_cbranch_execz .LBB21_56
; %bb.42:                               ;   in Loop: Header=BB21_26 Depth=1
	v_mul_lo_u32 v6, s11, v3
	v_ashrrev_i32_e32 v4, 31, v3
	s_mov_b32 s26, 0
	s_mov_b32 s27, 0
	s_delay_alu instid0(VALU_DEP_1) | instskip(NEXT) | instid1(VALU_DEP_3)
	v_lshlrev_b64 v[26:27], 2, v[3:4]
	v_add_nc_u32_e32 v14, v9, v6
	v_add_nc_u32_e32 v6, v10, v6
	s_delay_alu instid0(VALU_DEP_2) | instskip(NEXT) | instid1(VALU_DEP_2)
	v_mad_u64_u32 v[12:13], null, s11, v14, v[10:11]
	v_mad_u64_u32 v[13:14], null, s11, v6, v[9:10]
	v_add_co_u32 v14, vcc_lo, s20, v26
	v_add_co_ci_u32_e32 v15, vcc_lo, s21, v27, vcc_lo
	s_branch .LBB21_44
.LBB21_43:                              ;   in Loop: Header=BB21_44 Depth=2
	s_or_b32 exec_lo, exec_lo, s28
	v_dual_mov_b32 v6, v3 :: v_dual_mov_b32 v3, v4
	s_and_b32 s1, exec_lo, s29
	s_delay_alu instid0(SALU_CYCLE_1) | instskip(NEXT) | instid1(SALU_CYCLE_1)
	s_or_b32 s26, s1, s26
	s_and_not1_b32 exec_lo, exec_lo, s26
	s_cbranch_execz .LBB21_55
.LBB21_44:                              ;   Parent Loop BB21_26 Depth=1
                                        ; =>  This Inner Loop Header: Depth=2
	global_load_b32 v4, v[14:15], off
	s_waitcnt vmcnt(0)
	v_subrev_nc_u32_e32 v4, s5, v4
	s_delay_alu instid0(VALU_DEP_1) | instskip(NEXT) | instid1(VALU_DEP_1)
	v_cmp_le_i32_e64 s1, v4, v25
	s_and_saveexec_b32 s28, s1
	s_delay_alu instid0(SALU_CYCLE_1)
	s_xor_b32 s28, exec_lo, s28
	s_cbranch_execz .LBB21_50
; %bb.45:                               ;   in Loop: Header=BB21_44 Depth=2
	ds_store_b32 v19, v24
	s_and_saveexec_b32 s29, s0
	s_cbranch_execz .LBB21_49
; %bb.46:                               ;   in Loop: Header=BB21_44 Depth=2
	s_and_b32 vcc_lo, exec_lo, s8
	s_cbranch_vccz .LBB21_54
; %bb.47:                               ;   in Loop: Header=BB21_44 Depth=2
	v_add_nc_u32_e32 v26, s27, v13
	ds_load_b64 v[28:29], v21
	v_ashrrev_i32_e32 v27, 31, v26
	s_delay_alu instid0(VALU_DEP_1) | instskip(NEXT) | instid1(VALU_DEP_1)
	v_lshlrev_b64 v[26:27], 3, v[26:27]
	v_add_co_u32 v26, vcc_lo, s24, v26
	s_delay_alu instid0(VALU_DEP_2) | instskip(SKIP_4) | instid1(VALU_DEP_2)
	v_add_co_ci_u32_e32 v27, vcc_lo, s25, v27, vcc_lo
	global_load_b64 v[26:27], v[26:27], off
	s_waitcnt vmcnt(0) lgkmcnt(0)
	v_fma_f32 v4, s2, v26, v28
	v_fmac_f32_e32 v29, s17, v26
	v_fma_f32 v28, -s17, v27, v4
	s_delay_alu instid0(VALU_DEP_2)
	v_fmac_f32_e32 v29, s2, v27
	ds_store_b64 v21, v[28:29]
	s_cbranch_execnz .LBB21_49
.LBB21_48:                              ;   in Loop: Header=BB21_44 Depth=2
	v_add_nc_u32_e32 v26, s27, v12
	ds_load_b64 v[28:29], v22
	v_ashrrev_i32_e32 v27, 31, v26
	s_delay_alu instid0(VALU_DEP_1) | instskip(NEXT) | instid1(VALU_DEP_1)
	v_lshlrev_b64 v[26:27], 3, v[26:27]
	v_add_co_u32 v26, vcc_lo, s24, v26
	s_delay_alu instid0(VALU_DEP_2) | instskip(SKIP_4) | instid1(VALU_DEP_2)
	v_add_co_ci_u32_e32 v27, vcc_lo, s25, v27, vcc_lo
	global_load_b64 v[26:27], v[26:27], off
	s_waitcnt vmcnt(0) lgkmcnt(0)
	v_fma_f32 v4, s2, v26, v28
	v_fmac_f32_e32 v29, s17, v26
	v_fma_f32 v28, -s17, v27, v4
	s_delay_alu instid0(VALU_DEP_2)
	v_fmac_f32_e32 v29, s2, v27
	ds_store_b64 v22, v[28:29]
.LBB21_49:                              ;   in Loop: Header=BB21_44 Depth=2
	s_or_b32 exec_lo, exec_lo, s29
                                        ; implicit-def: $vgpr4
	s_and_not1_saveexec_b32 s28, s28
	s_branch .LBB21_51
.LBB21_50:                              ;   in Loop: Header=BB21_44 Depth=2
	s_and_not1_saveexec_b32 s28, s28
.LBB21_51:                              ;   in Loop: Header=BB21_44 Depth=2
	v_min_i32_e32 v2, v4, v2
; %bb.52:                               ;   in Loop: Header=BB21_44 Depth=2
	s_or_b32 exec_lo, exec_lo, s28
	s_mov_b32 s29, -1
                                        ; implicit-def: $vgpr4
	s_and_saveexec_b32 s28, s1
	s_cbranch_execz .LBB21_43
; %bb.53:                               ;   in Loop: Header=BB21_44 Depth=2
	v_dual_mov_b32 v3, v17 :: v_dual_add_nc_u32 v4, 1, v3
	v_add_co_u32 v14, s1, v14, 4
	s_delay_alu instid0(VALU_DEP_1) | instskip(NEXT) | instid1(VALU_DEP_3)
	v_add_co_ci_u32_e64 v15, s1, 0, v15, s1
	v_cmp_ge_i32_e32 vcc_lo, v4, v17
	s_add_i32 s27, s27, s9
	s_or_not1_b32 s29, vcc_lo, exec_lo
	s_branch .LBB21_43
.LBB21_54:                              ;   in Loop: Header=BB21_44 Depth=2
	s_branch .LBB21_48
.LBB21_55:                              ;   in Loop: Header=BB21_26 Depth=1
	s_or_b32 exec_lo, exec_lo, s26
	v_mov_b32_e32 v3, v6
.LBB21_56:                              ;   in Loop: Header=BB21_26 Depth=1
	s_or_b32 exec_lo, exec_lo, s16
	s_waitcnt lgkmcnt(0)
	s_barrier
	buffer_gl0_inv
	ds_load_b32 v4, v19
	s_mov_b32 s1, exec_lo
	s_waitcnt lgkmcnt(0)
	v_cmpx_ne_u32_e32 0, v4
	s_cbranch_execz .LBB21_25
; %bb.57:                               ;   in Loop: Header=BB21_26 Depth=1
	v_ashrrev_i32_e32 v6, 31, v5
	v_add_nc_u32_e32 v4, s6, v25
	s_delay_alu instid0(VALU_DEP_2) | instskip(NEXT) | instid1(VALU_DEP_1)
	v_lshlrev_b64 v[12:13], 2, v[5:6]
	v_add_co_u32 v12, vcc_lo, s12, v12
	s_delay_alu instid0(VALU_DEP_2)
	v_add_co_ci_u32_e32 v13, vcc_lo, s13, v13, vcc_lo
	global_store_b32 v[12:13], v4, off
	s_and_b32 exec_lo, exec_lo, s0
	s_cbranch_execz .LBB21_25
; %bb.58:                               ;   in Loop: Header=BB21_26 Depth=1
	v_mad_u64_u32 v[12:13], null, v5, s11, v[0:1]
	ds_load_b64 v[25:26], v23
	v_mad_u64_u32 v[13:14], null, v12, s11, v[11:12]
	s_delay_alu instid0(VALU_DEP_1) | instskip(NEXT) | instid1(VALU_DEP_1)
	v_ashrrev_i32_e32 v14, 31, v13
	v_lshlrev_b64 v[12:13], 3, v[13:14]
	s_delay_alu instid0(VALU_DEP_1) | instskip(NEXT) | instid1(VALU_DEP_2)
	v_add_co_u32 v12, vcc_lo, s14, v12
	v_add_co_ci_u32_e32 v13, vcc_lo, s15, v13, vcc_lo
	s_waitcnt lgkmcnt(0)
	global_store_b64 v[12:13], v[25:26], off
	s_branch .LBB21_25
	.section	.rodata,"a",@progbits
	.p2align	6, 0x0
	.amdhsa_kernel _ZN9rocsparseL35bsrgeam_wf_per_row_multipass_kernelILj64ELj8E21rocsparse_complex_numIfEEEv20rocsparse_direction_iiiNS_24const_host_device_scalarIT1_EEPKiS8_PKS5_S6_S8_S8_SA_S8_PiPS5_21rocsparse_index_base_SD_SD_b
		.amdhsa_group_segment_fixed_size 520
		.amdhsa_private_segment_fixed_size 0
		.amdhsa_kernarg_size 120
		.amdhsa_user_sgpr_count 15
		.amdhsa_user_sgpr_dispatch_ptr 0
		.amdhsa_user_sgpr_queue_ptr 0
		.amdhsa_user_sgpr_kernarg_segment_ptr 1
		.amdhsa_user_sgpr_dispatch_id 0
		.amdhsa_user_sgpr_private_segment_size 0
		.amdhsa_wavefront_size32 1
		.amdhsa_uses_dynamic_stack 0
		.amdhsa_enable_private_segment 0
		.amdhsa_system_sgpr_workgroup_id_x 1
		.amdhsa_system_sgpr_workgroup_id_y 0
		.amdhsa_system_sgpr_workgroup_id_z 0
		.amdhsa_system_sgpr_workgroup_info 0
		.amdhsa_system_vgpr_workitem_id 0
		.amdhsa_next_free_vgpr 30
		.amdhsa_next_free_sgpr 30
		.amdhsa_reserve_vcc 1
		.amdhsa_float_round_mode_32 0
		.amdhsa_float_round_mode_16_64 0
		.amdhsa_float_denorm_mode_32 3
		.amdhsa_float_denorm_mode_16_64 3
		.amdhsa_dx10_clamp 1
		.amdhsa_ieee_mode 1
		.amdhsa_fp16_overflow 0
		.amdhsa_workgroup_processor_mode 1
		.amdhsa_memory_ordered 1
		.amdhsa_forward_progress 0
		.amdhsa_shared_vgpr_count 0
		.amdhsa_exception_fp_ieee_invalid_op 0
		.amdhsa_exception_fp_denorm_src 0
		.amdhsa_exception_fp_ieee_div_zero 0
		.amdhsa_exception_fp_ieee_overflow 0
		.amdhsa_exception_fp_ieee_underflow 0
		.amdhsa_exception_fp_ieee_inexact 0
		.amdhsa_exception_int_div_zero 0
	.end_amdhsa_kernel
	.section	.text._ZN9rocsparseL35bsrgeam_wf_per_row_multipass_kernelILj64ELj8E21rocsparse_complex_numIfEEEv20rocsparse_direction_iiiNS_24const_host_device_scalarIT1_EEPKiS8_PKS5_S6_S8_S8_SA_S8_PiPS5_21rocsparse_index_base_SD_SD_b,"axG",@progbits,_ZN9rocsparseL35bsrgeam_wf_per_row_multipass_kernelILj64ELj8E21rocsparse_complex_numIfEEEv20rocsparse_direction_iiiNS_24const_host_device_scalarIT1_EEPKiS8_PKS5_S6_S8_S8_SA_S8_PiPS5_21rocsparse_index_base_SD_SD_b,comdat
.Lfunc_end21:
	.size	_ZN9rocsparseL35bsrgeam_wf_per_row_multipass_kernelILj64ELj8E21rocsparse_complex_numIfEEEv20rocsparse_direction_iiiNS_24const_host_device_scalarIT1_EEPKiS8_PKS5_S6_S8_S8_SA_S8_PiPS5_21rocsparse_index_base_SD_SD_b, .Lfunc_end21-_ZN9rocsparseL35bsrgeam_wf_per_row_multipass_kernelILj64ELj8E21rocsparse_complex_numIfEEEv20rocsparse_direction_iiiNS_24const_host_device_scalarIT1_EEPKiS8_PKS5_S6_S8_S8_SA_S8_PiPS5_21rocsparse_index_base_SD_SD_b
                                        ; -- End function
	.section	.AMDGPU.csdata,"",@progbits
; Kernel info:
; codeLenInByte = 2216
; NumSgprs: 32
; NumVgprs: 30
; ScratchSize: 0
; MemoryBound: 0
; FloatMode: 240
; IeeeMode: 1
; LDSByteSize: 520 bytes/workgroup (compile time only)
; SGPRBlocks: 3
; VGPRBlocks: 3
; NumSGPRsForWavesPerEU: 32
; NumVGPRsForWavesPerEU: 30
; Occupancy: 16
; WaveLimiterHint : 0
; COMPUTE_PGM_RSRC2:SCRATCH_EN: 0
; COMPUTE_PGM_RSRC2:USER_SGPR: 15
; COMPUTE_PGM_RSRC2:TRAP_HANDLER: 0
; COMPUTE_PGM_RSRC2:TGID_X_EN: 1
; COMPUTE_PGM_RSRC2:TGID_Y_EN: 0
; COMPUTE_PGM_RSRC2:TGID_Z_EN: 0
; COMPUTE_PGM_RSRC2:TIDIG_COMP_CNT: 0
	.section	.text._ZN9rocsparseL39bsrgeam_block_per_row_multipass_kernel2ILj256ELj16E21rocsparse_complex_numIfEEEv20rocsparse_direction_iiiNS_24const_host_device_scalarIT1_EEPKiS8_PKS5_S6_S8_S8_SA_S8_PiPS5_21rocsparse_index_base_SD_SD_b,"axG",@progbits,_ZN9rocsparseL39bsrgeam_block_per_row_multipass_kernel2ILj256ELj16E21rocsparse_complex_numIfEEEv20rocsparse_direction_iiiNS_24const_host_device_scalarIT1_EEPKiS8_PKS5_S6_S8_S8_SA_S8_PiPS5_21rocsparse_index_base_SD_SD_b,comdat
	.globl	_ZN9rocsparseL39bsrgeam_block_per_row_multipass_kernel2ILj256ELj16E21rocsparse_complex_numIfEEEv20rocsparse_direction_iiiNS_24const_host_device_scalarIT1_EEPKiS8_PKS5_S6_S8_S8_SA_S8_PiPS5_21rocsparse_index_base_SD_SD_b ; -- Begin function _ZN9rocsparseL39bsrgeam_block_per_row_multipass_kernel2ILj256ELj16E21rocsparse_complex_numIfEEEv20rocsparse_direction_iiiNS_24const_host_device_scalarIT1_EEPKiS8_PKS5_S6_S8_S8_SA_S8_PiPS5_21rocsparse_index_base_SD_SD_b
	.p2align	8
	.type	_ZN9rocsparseL39bsrgeam_block_per_row_multipass_kernel2ILj256ELj16E21rocsparse_complex_numIfEEEv20rocsparse_direction_iiiNS_24const_host_device_scalarIT1_EEPKiS8_PKS5_S6_S8_S8_SA_S8_PiPS5_21rocsparse_index_base_SD_SD_b,@function
_ZN9rocsparseL39bsrgeam_block_per_row_multipass_kernel2ILj256ELj16E21rocsparse_complex_numIfEEEv20rocsparse_direction_iiiNS_24const_host_device_scalarIT1_EEPKiS8_PKS5_S6_S8_S8_SA_S8_PiPS5_21rocsparse_index_base_SD_SD_b: ; @_ZN9rocsparseL39bsrgeam_block_per_row_multipass_kernel2ILj256ELj16E21rocsparse_complex_numIfEEEv20rocsparse_direction_iiiNS_24const_host_device_scalarIT1_EEPKiS8_PKS5_S6_S8_S8_SA_S8_PiPS5_21rocsparse_index_base_SD_SD_b
; %bb.0:
	s_clause 0x2
	s_load_b128 s[4:7], s[0:1], 0x68
	s_load_b64 s[2:3], s[0:1], 0x10
	s_load_b64 s[12:13], s[0:1], 0x30
	s_mov_b32 s8, s15
	s_waitcnt lgkmcnt(0)
	s_bitcmp1_b32 s7, 0
	s_cselect_b32 s7, -1, 0
	s_delay_alu instid0(SALU_CYCLE_1)
	s_xor_b32 s9, s7, -1
	s_and_b32 vcc_lo, exec_lo, s7
	s_mov_b32 s7, s2
	s_cbranch_vccnz .LBB22_2
; %bb.1:
	s_load_b32 s7, s[2:3], 0x0
.LBB22_2:
	v_cndmask_b32_e64 v1, 0, 1, s9
	s_and_not1_b32 vcc_lo, exec_lo, s9
	s_cbranch_vccnz .LBB22_4
; %bb.3:
	s_load_b32 s3, s[2:3], 0x4
.LBB22_4:
	s_clause 0x2
	s_load_b64 s[16:17], s[0:1], 0x18
	s_load_b64 s[10:11], s[0:1], 0x50
	;; [unrolled: 1-line block ×3, first 2 shown]
	v_cmp_ne_u32_e32 vcc_lo, 1, v1
	s_mov_b32 s2, s12
	s_cbranch_vccnz .LBB22_6
; %bb.5:
	s_load_b32 s2, s[12:13], 0x0
.LBB22_6:
	s_load_b64 s[14:15], s[0:1], 0x20
	v_cmp_ne_u32_e32 vcc_lo, 1, v1
	s_cbranch_vccnz .LBB22_8
; %bb.7:
	s_load_b32 s13, s[12:13], 0x4
.LBB22_8:
	s_ashr_i32 s9, s8, 31
	s_delay_alu instid0(SALU_CYCLE_1)
	s_lshl_b64 s[8:9], s[8:9], 2
	s_waitcnt lgkmcnt(0)
	s_add_u32 s16, s16, s8
	s_addc_u32 s17, s17, s9
	s_load_b64 s[24:25], s[16:17], 0x0
	s_load_b64 s[16:17], s[0:1], 0x8
	s_waitcnt lgkmcnt(0)
	s_sub_i32 s26, s24, s4
	s_add_u32 s20, s18, s8
	s_addc_u32 s21, s19, s9
	s_load_b64 s[18:19], s[0:1], 0x40
	s_load_b64 s[28:29], s[20:21], 0x0
	s_add_u32 s30, s10, s8
	s_addc_u32 s31, s11, s9
	s_cmp_ge_i32 s24, s25
	s_mov_b32 s27, s16
	s_cbranch_scc1 .LBB22_10
; %bb.9:
	s_ashr_i32 s27, s26, 31
	s_delay_alu instid0(SALU_CYCLE_1) | instskip(NEXT) | instid1(SALU_CYCLE_1)
	s_lshl_b64 s[8:9], s[26:27], 2
	s_add_u32 s8, s14, s8
	s_addc_u32 s9, s15, s9
	s_load_b32 s8, s[8:9], 0x0
	s_waitcnt lgkmcnt(0)
	s_sub_i32 s27, s8, s4
.LBB22_10:
	s_clause 0x2
	s_load_b128 s[8:11], s[0:1], 0x58
	s_load_b64 s[20:21], s[0:1], 0x28
	s_load_b64 s[22:23], s[0:1], 0x48
	s_load_b32 s24, s[30:31], 0x0
	s_waitcnt lgkmcnt(0)
	s_sub_i32 s30, s28, s5
	s_cmp_ge_i32 s28, s29
	s_mov_b32 s28, s16
	s_cbranch_scc1 .LBB22_12
; %bb.11:
	s_ashr_i32 s31, s30, 31
	s_delay_alu instid0(SALU_CYCLE_1) | instskip(NEXT) | instid1(SALU_CYCLE_1)
	s_lshl_b64 s[34:35], s[30:31], 2
	s_add_u32 s34, s18, s34
	s_addc_u32 s35, s19, s35
	s_load_b32 s12, s[34:35], 0x0
	s_waitcnt lgkmcnt(0)
	s_sub_i32 s28, s12, s5
.LBB22_12:
	s_load_b32 s31, s[0:1], 0x0
	v_lshrrev_b32_e32 v2, 4, v0
	v_dual_mov_b32 v7, 0 :: v_dual_mov_b32 v18, 1
	v_and_b32_e32 v1, 15, v0
	s_sub_i32 s1, s25, s4
	s_delay_alu instid0(VALU_DEP_3) | instskip(NEXT) | instid1(VALU_DEP_3)
	v_cmp_gt_i32_e64 s0, s17, v2
	v_mov_b32_e32 v8, v7
	s_sub_i32 s12, s29, s5
	v_cmp_gt_u32_e32 vcc_lo, s17, v1
	s_sub_i32 s24, s24, s6
	s_min_i32 s25, s28, s27
	v_mov_b32_e32 v5, s26
	v_mov_b32_e32 v3, s30
	s_and_b32 s26, vcc_lo, s0
	v_mov_b32_e32 v19, s25
	v_mov_b32_e32 v9, v7
	s_mov_b32 s27, 0
	s_mul_i32 s29, s17, s17
	s_waitcnt lgkmcnt(0)
	s_cmp_eq_u32 s31, 0
	s_cselect_b32 vcc_lo, -1, 0
	v_lshlrev_b32_e32 v15, 3, v0
	v_lshlrev_b32_e32 v0, 3, v2
	v_cndmask_b32_e32 v10, v2, v1, vcc_lo
	s_cmp_lg_u32 s31, 0
	s_cselect_b32 s28, -1, 0
	s_delay_alu instid0(VALU_DEP_2) | instskip(NEXT) | instid1(VALU_DEP_1)
	v_lshl_or_b32 v16, v1, 7, v0
	v_dual_cndmask_b32 v0, v1, v2 :: v_dual_cndmask_b32 v17, v16, v15
	s_branch .LBB22_15
.LBB22_13:                              ;   in Loop: Header=BB22_15 Depth=1
	s_or_b32 exec_lo, exec_lo, s0
.LBB22_14:                              ;   in Loop: Header=BB22_15 Depth=1
	s_waitcnt_vscnt null, 0x0
	s_barrier
	buffer_gl0_inv
	ds_load_b32 v4, v7 offset:2048
	v_cmp_le_i32_e32 vcc_lo, s16, v20
	v_mov_b32_e32 v19, v20
	s_waitcnt lgkmcnt(0)
	s_barrier
	buffer_gl0_inv
	v_readfirstlane_b32 s0, v4
	s_delay_alu instid0(VALU_DEP_1) | instskip(SKIP_1) | instid1(SALU_CYCLE_1)
	s_add_i32 s24, s0, s24
	s_or_b32 s27, vcc_lo, s27
	s_and_not1_b32 exec_lo, exec_lo, s27
	s_cbranch_execz .LBB22_48
.LBB22_15:                              ; =>This Loop Header: Depth=1
                                        ;     Child Loop BB22_18 Depth 2
                                        ;     Child Loop BB22_33 Depth 2
	v_mov_b32_e32 v20, s16
	s_mov_b32 s25, exec_lo
	ds_store_b32 v7, v7 offset:2048
	ds_store_b64 v15, v[8:9]
	s_waitcnt lgkmcnt(0)
	s_barrier
	buffer_gl0_inv
	v_cmpx_gt_i32_e64 s1, v5
	s_cbranch_execz .LBB22_30
; %bb.16:                               ;   in Loop: Header=BB22_15 Depth=1
	v_mul_lo_u32 v4, s17, v5
	v_ashrrev_i32_e32 v6, 31, v5
	s_mov_b32 s30, 0
	s_mov_b32 s31, 0
	s_delay_alu instid0(VALU_DEP_1) | instskip(NEXT) | instid1(VALU_DEP_3)
	v_lshlrev_b64 v[20:21], 2, v[5:6]
	v_add_nc_u32_e32 v13, v2, v4
	v_add_nc_u32_e32 v4, v1, v4
	s_delay_alu instid0(VALU_DEP_2) | instskip(NEXT) | instid1(VALU_DEP_2)
	v_mad_u64_u32 v[11:12], null, s17, v13, v[1:2]
	v_mad_u64_u32 v[12:13], null, s17, v4, v[2:3]
	v_add_co_u32 v13, vcc_lo, s14, v20
	v_mov_b32_e32 v20, s16
	v_add_co_ci_u32_e32 v14, vcc_lo, s15, v21, vcc_lo
	s_branch .LBB22_18
.LBB22_17:                              ;   in Loop: Header=BB22_18 Depth=2
	s_or_b32 exec_lo, exec_lo, s34
	s_delay_alu instid0(SALU_CYCLE_1) | instskip(NEXT) | instid1(SALU_CYCLE_1)
	s_and_b32 s0, exec_lo, s33
	s_or_b32 s30, s0, s30
	s_delay_alu instid0(SALU_CYCLE_1)
	s_and_not1_b32 exec_lo, exec_lo, s30
	s_cbranch_execz .LBB22_29
.LBB22_18:                              ;   Parent Loop BB22_15 Depth=1
                                        ; =>  This Inner Loop Header: Depth=2
	global_load_b32 v4, v[13:14], off
	s_mov_b32 s33, exec_lo
	s_waitcnt vmcnt(0)
	v_subrev_nc_u32_e32 v4, s4, v4
	s_delay_alu instid0(VALU_DEP_1)
	v_cmp_eq_u32_e64 s0, v4, v19
	v_cmpx_ne_u32_e64 v4, v19
	s_xor_b32 s33, exec_lo, s33
	s_cbranch_execnz .LBB22_21
; %bb.19:                               ;   in Loop: Header=BB22_18 Depth=2
	s_and_not1_saveexec_b32 s33, s33
	s_cbranch_execnz .LBB22_22
.LBB22_20:                              ;   in Loop: Header=BB22_18 Depth=2
	s_or_b32 exec_lo, exec_lo, s33
	s_mov_b32 s33, -1
	s_and_saveexec_b32 s34, s0
	s_cbranch_execz .LBB22_17
	s_branch .LBB22_28
.LBB22_21:                              ;   in Loop: Header=BB22_18 Depth=2
	v_min_i32_e32 v20, v4, v20
	s_and_not1_saveexec_b32 s33, s33
	s_cbranch_execz .LBB22_20
.LBB22_22:                              ;   in Loop: Header=BB22_18 Depth=2
	ds_store_b32 v7, v18 offset:2048
	s_and_saveexec_b32 s34, s26
	s_cbranch_execz .LBB22_27
; %bb.23:                               ;   in Loop: Header=BB22_18 Depth=2
	s_and_b32 vcc_lo, exec_lo, s28
	s_cbranch_vccz .LBB22_25
; %bb.24:                               ;   in Loop: Header=BB22_18 Depth=2
	v_add_nc_u32_e32 v6, s31, v12
	s_delay_alu instid0(VALU_DEP_1) | instskip(NEXT) | instid1(VALU_DEP_1)
	v_lshlrev_b64 v[21:22], 3, v[6:7]
	v_add_co_u32 v21, vcc_lo, s20, v21
	s_delay_alu instid0(VALU_DEP_2) | instskip(SKIP_3) | instid1(VALU_DEP_1)
	v_add_co_ci_u32_e32 v22, vcc_lo, s21, v22, vcc_lo
	global_load_b64 v[21:22], v[21:22], off
	s_waitcnt vmcnt(0)
	v_mul_f32_e64 v23, v22, -s3
	v_dual_mul_f32 v24, s7, v22 :: v_dual_fmac_f32 v23, s7, v21
	s_delay_alu instid0(VALU_DEP_1)
	v_fmac_f32_e32 v24, s3, v21
	ds_store_b64 v16, v[23:24]
	s_cbranch_execz .LBB22_26
	s_branch .LBB22_27
.LBB22_25:                              ;   in Loop: Header=BB22_18 Depth=2
.LBB22_26:                              ;   in Loop: Header=BB22_18 Depth=2
	v_add_nc_u32_e32 v6, s31, v11
	s_delay_alu instid0(VALU_DEP_1) | instskip(NEXT) | instid1(VALU_DEP_1)
	v_lshlrev_b64 v[21:22], 3, v[6:7]
	v_add_co_u32 v21, vcc_lo, s20, v21
	s_delay_alu instid0(VALU_DEP_2) | instskip(SKIP_3) | instid1(VALU_DEP_1)
	v_add_co_ci_u32_e32 v22, vcc_lo, s21, v22, vcc_lo
	global_load_b64 v[21:22], v[21:22], off
	s_waitcnt vmcnt(0)
	v_mul_f32_e64 v23, v22, -s3
	v_dual_mul_f32 v24, s7, v22 :: v_dual_fmac_f32 v23, s7, v21
	s_delay_alu instid0(VALU_DEP_1)
	v_fmac_f32_e32 v24, s3, v21
	ds_store_b64 v15, v[23:24]
.LBB22_27:                              ;   in Loop: Header=BB22_18 Depth=2
	s_or_b32 exec_lo, exec_lo, s34
	s_delay_alu instid0(SALU_CYCLE_1)
	s_or_b32 exec_lo, exec_lo, s33
	s_mov_b32 s33, -1
	s_and_saveexec_b32 s34, s0
	s_cbranch_execz .LBB22_17
.LBB22_28:                              ;   in Loop: Header=BB22_18 Depth=2
	v_add_nc_u32_e32 v5, 1, v5
	v_add_co_u32 v13, s0, v13, 4
	s_delay_alu instid0(VALU_DEP_1) | instskip(NEXT) | instid1(VALU_DEP_3)
	v_add_co_ci_u32_e64 v14, s0, 0, v14, s0
	v_cmp_le_i32_e32 vcc_lo, s1, v5
	s_add_i32 s31, s31, s29
	s_or_not1_b32 s33, vcc_lo, exec_lo
	s_branch .LBB22_17
.LBB22_29:                              ;   in Loop: Header=BB22_15 Depth=1
	s_or_b32 exec_lo, exec_lo, s30
.LBB22_30:                              ;   in Loop: Header=BB22_15 Depth=1
	s_delay_alu instid0(SALU_CYCLE_1) | instskip(NEXT) | instid1(SALU_CYCLE_1)
	s_or_b32 exec_lo, exec_lo, s25
	s_mov_b32 s25, exec_lo
	s_waitcnt lgkmcnt(0)
	s_barrier
	buffer_gl0_inv
	v_cmpx_gt_i32_e64 s12, v3
	s_cbranch_execz .LBB22_45
; %bb.31:                               ;   in Loop: Header=BB22_15 Depth=1
	v_mul_lo_u32 v6, s17, v3
	v_ashrrev_i32_e32 v4, 31, v3
	s_mov_b32 s30, 0
	s_mov_b32 s31, 0
	s_delay_alu instid0(VALU_DEP_1) | instskip(NEXT) | instid1(VALU_DEP_3)
	v_lshlrev_b64 v[21:22], 2, v[3:4]
	v_add_nc_u32_e32 v13, v2, v6
	v_add_nc_u32_e32 v6, v1, v6
	s_delay_alu instid0(VALU_DEP_2) | instskip(NEXT) | instid1(VALU_DEP_2)
	v_mad_u64_u32 v[11:12], null, s17, v13, v[1:2]
	v_mad_u64_u32 v[12:13], null, s17, v6, v[2:3]
	v_add_co_u32 v13, vcc_lo, s18, v21
	v_add_co_ci_u32_e32 v14, vcc_lo, s19, v22, vcc_lo
	s_branch .LBB22_33
.LBB22_32:                              ;   in Loop: Header=BB22_33 Depth=2
	s_or_b32 exec_lo, exec_lo, s34
	s_delay_alu instid0(SALU_CYCLE_1) | instskip(NEXT) | instid1(SALU_CYCLE_1)
	s_and_b32 s0, exec_lo, s33
	s_or_b32 s30, s0, s30
	s_delay_alu instid0(SALU_CYCLE_1)
	s_and_not1_b32 exec_lo, exec_lo, s30
	s_cbranch_execz .LBB22_44
.LBB22_33:                              ;   Parent Loop BB22_15 Depth=1
                                        ; =>  This Inner Loop Header: Depth=2
	global_load_b32 v4, v[13:14], off
	s_mov_b32 s33, exec_lo
	s_waitcnt vmcnt(0)
	v_subrev_nc_u32_e32 v4, s5, v4
	s_delay_alu instid0(VALU_DEP_1)
	v_cmp_eq_u32_e64 s0, v4, v19
	v_cmpx_ne_u32_e64 v4, v19
	s_xor_b32 s33, exec_lo, s33
	s_cbranch_execnz .LBB22_36
; %bb.34:                               ;   in Loop: Header=BB22_33 Depth=2
	s_and_not1_saveexec_b32 s33, s33
	s_cbranch_execnz .LBB22_37
.LBB22_35:                              ;   in Loop: Header=BB22_33 Depth=2
	s_or_b32 exec_lo, exec_lo, s33
	s_mov_b32 s33, -1
	s_and_saveexec_b32 s34, s0
	s_cbranch_execz .LBB22_32
	s_branch .LBB22_43
.LBB22_36:                              ;   in Loop: Header=BB22_33 Depth=2
	v_min_i32_e32 v20, v4, v20
	s_and_not1_saveexec_b32 s33, s33
	s_cbranch_execz .LBB22_35
.LBB22_37:                              ;   in Loop: Header=BB22_33 Depth=2
	ds_store_b32 v7, v18 offset:2048
	s_and_saveexec_b32 s34, s26
	s_cbranch_execz .LBB22_42
; %bb.38:                               ;   in Loop: Header=BB22_33 Depth=2
	s_and_b32 vcc_lo, exec_lo, s28
	s_cbranch_vccz .LBB22_40
; %bb.39:                               ;   in Loop: Header=BB22_33 Depth=2
	v_add_nc_u32_e32 v6, s31, v12
	ds_load_b64 v[23:24], v16
	v_lshlrev_b64 v[21:22], 3, v[6:7]
	s_delay_alu instid0(VALU_DEP_1) | instskip(NEXT) | instid1(VALU_DEP_2)
	v_add_co_u32 v21, vcc_lo, s22, v21
	v_add_co_ci_u32_e32 v22, vcc_lo, s23, v22, vcc_lo
	global_load_b64 v[21:22], v[21:22], off
	s_waitcnt vmcnt(0) lgkmcnt(0)
	v_fma_f32 v4, s2, v21, v23
	v_fmac_f32_e32 v24, s13, v21
	s_delay_alu instid0(VALU_DEP_2) | instskip(NEXT) | instid1(VALU_DEP_2)
	v_fma_f32 v23, -s13, v22, v4
	v_fmac_f32_e32 v24, s2, v22
	ds_store_b64 v16, v[23:24]
	s_cbranch_execz .LBB22_41
	s_branch .LBB22_42
.LBB22_40:                              ;   in Loop: Header=BB22_33 Depth=2
.LBB22_41:                              ;   in Loop: Header=BB22_33 Depth=2
	v_add_nc_u32_e32 v6, s31, v11
	ds_load_b64 v[23:24], v15
	v_lshlrev_b64 v[21:22], 3, v[6:7]
	s_delay_alu instid0(VALU_DEP_1) | instskip(NEXT) | instid1(VALU_DEP_2)
	v_add_co_u32 v21, vcc_lo, s22, v21
	v_add_co_ci_u32_e32 v22, vcc_lo, s23, v22, vcc_lo
	global_load_b64 v[21:22], v[21:22], off
	s_waitcnt vmcnt(0) lgkmcnt(0)
	v_fma_f32 v4, s2, v21, v23
	v_fmac_f32_e32 v24, s13, v21
	s_delay_alu instid0(VALU_DEP_2) | instskip(NEXT) | instid1(VALU_DEP_2)
	v_fma_f32 v23, -s13, v22, v4
	v_fmac_f32_e32 v24, s2, v22
	ds_store_b64 v15, v[23:24]
.LBB22_42:                              ;   in Loop: Header=BB22_33 Depth=2
	s_or_b32 exec_lo, exec_lo, s34
	s_delay_alu instid0(SALU_CYCLE_1)
	s_or_b32 exec_lo, exec_lo, s33
	s_mov_b32 s33, -1
	s_and_saveexec_b32 s34, s0
	s_cbranch_execz .LBB22_32
.LBB22_43:                              ;   in Loop: Header=BB22_33 Depth=2
	v_add_nc_u32_e32 v3, 1, v3
	v_add_co_u32 v13, s0, v13, 4
	s_delay_alu instid0(VALU_DEP_1) | instskip(NEXT) | instid1(VALU_DEP_3)
	v_add_co_ci_u32_e64 v14, s0, 0, v14, s0
	v_cmp_le_i32_e32 vcc_lo, s12, v3
	s_add_i32 s31, s31, s29
	s_or_not1_b32 s33, vcc_lo, exec_lo
	s_branch .LBB22_32
.LBB22_44:                              ;   in Loop: Header=BB22_15 Depth=1
	s_or_b32 exec_lo, exec_lo, s30
.LBB22_45:                              ;   in Loop: Header=BB22_15 Depth=1
	s_delay_alu instid0(SALU_CYCLE_1)
	s_or_b32 exec_lo, exec_lo, s25
	s_waitcnt lgkmcnt(0)
	s_barrier
	buffer_gl0_inv
	ds_load_b32 v4, v7 offset:2048
	s_waitcnt lgkmcnt(0)
	v_cmp_eq_u32_e32 vcc_lo, 0, v4
	s_cbranch_vccnz .LBB22_14
; %bb.46:                               ;   in Loop: Header=BB22_15 Depth=1
	s_ashr_i32 s25, s24, 31
	v_add_nc_u32_e32 v4, s6, v19
	s_lshl_b64 s[30:31], s[24:25], 2
	s_delay_alu instid0(SALU_CYCLE_1)
	s_add_u32 s30, s8, s30
	s_addc_u32 s31, s9, s31
	global_store_b32 v7, v4, s[30:31]
	s_and_saveexec_b32 s0, s26
	s_cbranch_execz .LBB22_13
; %bb.47:                               ;   in Loop: Header=BB22_15 Depth=1
	v_mad_u64_u32 v[11:12], null, s24, s17, v[0:1]
	ds_load_b64 v[21:22], v17
	v_mad_u64_u32 v[12:13], null, v11, s17, v[10:11]
	v_mov_b32_e32 v13, v7
	s_delay_alu instid0(VALU_DEP_1) | instskip(NEXT) | instid1(VALU_DEP_1)
	v_lshlrev_b64 v[11:12], 3, v[12:13]
	v_add_co_u32 v11, vcc_lo, s10, v11
	s_delay_alu instid0(VALU_DEP_2)
	v_add_co_ci_u32_e32 v12, vcc_lo, s11, v12, vcc_lo
	s_waitcnt lgkmcnt(0)
	global_store_b64 v[11:12], v[21:22], off
	s_branch .LBB22_13
.LBB22_48:
	s_endpgm
	.section	.rodata,"a",@progbits
	.p2align	6, 0x0
	.amdhsa_kernel _ZN9rocsparseL39bsrgeam_block_per_row_multipass_kernel2ILj256ELj16E21rocsparse_complex_numIfEEEv20rocsparse_direction_iiiNS_24const_host_device_scalarIT1_EEPKiS8_PKS5_S6_S8_S8_SA_S8_PiPS5_21rocsparse_index_base_SD_SD_b
		.amdhsa_group_segment_fixed_size 2052
		.amdhsa_private_segment_fixed_size 0
		.amdhsa_kernarg_size 120
		.amdhsa_user_sgpr_count 15
		.amdhsa_user_sgpr_dispatch_ptr 0
		.amdhsa_user_sgpr_queue_ptr 0
		.amdhsa_user_sgpr_kernarg_segment_ptr 1
		.amdhsa_user_sgpr_dispatch_id 0
		.amdhsa_user_sgpr_private_segment_size 0
		.amdhsa_wavefront_size32 1
		.amdhsa_uses_dynamic_stack 0
		.amdhsa_enable_private_segment 0
		.amdhsa_system_sgpr_workgroup_id_x 1
		.amdhsa_system_sgpr_workgroup_id_y 0
		.amdhsa_system_sgpr_workgroup_id_z 0
		.amdhsa_system_sgpr_workgroup_info 0
		.amdhsa_system_vgpr_workitem_id 0
		.amdhsa_next_free_vgpr 25
		.amdhsa_next_free_sgpr 36
		.amdhsa_reserve_vcc 1
		.amdhsa_float_round_mode_32 0
		.amdhsa_float_round_mode_16_64 0
		.amdhsa_float_denorm_mode_32 3
		.amdhsa_float_denorm_mode_16_64 3
		.amdhsa_dx10_clamp 1
		.amdhsa_ieee_mode 1
		.amdhsa_fp16_overflow 0
		.amdhsa_workgroup_processor_mode 1
		.amdhsa_memory_ordered 1
		.amdhsa_forward_progress 0
		.amdhsa_shared_vgpr_count 0
		.amdhsa_exception_fp_ieee_invalid_op 0
		.amdhsa_exception_fp_denorm_src 0
		.amdhsa_exception_fp_ieee_div_zero 0
		.amdhsa_exception_fp_ieee_overflow 0
		.amdhsa_exception_fp_ieee_underflow 0
		.amdhsa_exception_fp_ieee_inexact 0
		.amdhsa_exception_int_div_zero 0
	.end_amdhsa_kernel
	.section	.text._ZN9rocsparseL39bsrgeam_block_per_row_multipass_kernel2ILj256ELj16E21rocsparse_complex_numIfEEEv20rocsparse_direction_iiiNS_24const_host_device_scalarIT1_EEPKiS8_PKS5_S6_S8_S8_SA_S8_PiPS5_21rocsparse_index_base_SD_SD_b,"axG",@progbits,_ZN9rocsparseL39bsrgeam_block_per_row_multipass_kernel2ILj256ELj16E21rocsparse_complex_numIfEEEv20rocsparse_direction_iiiNS_24const_host_device_scalarIT1_EEPKiS8_PKS5_S6_S8_S8_SA_S8_PiPS5_21rocsparse_index_base_SD_SD_b,comdat
.Lfunc_end22:
	.size	_ZN9rocsparseL39bsrgeam_block_per_row_multipass_kernel2ILj256ELj16E21rocsparse_complex_numIfEEEv20rocsparse_direction_iiiNS_24const_host_device_scalarIT1_EEPKiS8_PKS5_S6_S8_S8_SA_S8_PiPS5_21rocsparse_index_base_SD_SD_b, .Lfunc_end22-_ZN9rocsparseL39bsrgeam_block_per_row_multipass_kernel2ILj256ELj16E21rocsparse_complex_numIfEEEv20rocsparse_direction_iiiNS_24const_host_device_scalarIT1_EEPKiS8_PKS5_S6_S8_S8_SA_S8_PiPS5_21rocsparse_index_base_SD_SD_b
                                        ; -- End function
	.section	.AMDGPU.csdata,"",@progbits
; Kernel info:
; codeLenInByte = 1768
; NumSgprs: 38
; NumVgprs: 25
; ScratchSize: 0
; MemoryBound: 0
; FloatMode: 240
; IeeeMode: 1
; LDSByteSize: 2052 bytes/workgroup (compile time only)
; SGPRBlocks: 4
; VGPRBlocks: 3
; NumSGPRsForWavesPerEU: 38
; NumVGPRsForWavesPerEU: 25
; Occupancy: 16
; WaveLimiterHint : 1
; COMPUTE_PGM_RSRC2:SCRATCH_EN: 0
; COMPUTE_PGM_RSRC2:USER_SGPR: 15
; COMPUTE_PGM_RSRC2:TRAP_HANDLER: 0
; COMPUTE_PGM_RSRC2:TGID_X_EN: 1
; COMPUTE_PGM_RSRC2:TGID_Y_EN: 0
; COMPUTE_PGM_RSRC2:TGID_Z_EN: 0
; COMPUTE_PGM_RSRC2:TIDIG_COMP_CNT: 0
	.section	.text._ZN9rocsparseL39bsrgeam_block_per_row_multipass_kernel2ILj256ELj32E21rocsparse_complex_numIfEEEv20rocsparse_direction_iiiNS_24const_host_device_scalarIT1_EEPKiS8_PKS5_S6_S8_S8_SA_S8_PiPS5_21rocsparse_index_base_SD_SD_b,"axG",@progbits,_ZN9rocsparseL39bsrgeam_block_per_row_multipass_kernel2ILj256ELj32E21rocsparse_complex_numIfEEEv20rocsparse_direction_iiiNS_24const_host_device_scalarIT1_EEPKiS8_PKS5_S6_S8_S8_SA_S8_PiPS5_21rocsparse_index_base_SD_SD_b,comdat
	.globl	_ZN9rocsparseL39bsrgeam_block_per_row_multipass_kernel2ILj256ELj32E21rocsparse_complex_numIfEEEv20rocsparse_direction_iiiNS_24const_host_device_scalarIT1_EEPKiS8_PKS5_S6_S8_S8_SA_S8_PiPS5_21rocsparse_index_base_SD_SD_b ; -- Begin function _ZN9rocsparseL39bsrgeam_block_per_row_multipass_kernel2ILj256ELj32E21rocsparse_complex_numIfEEEv20rocsparse_direction_iiiNS_24const_host_device_scalarIT1_EEPKiS8_PKS5_S6_S8_S8_SA_S8_PiPS5_21rocsparse_index_base_SD_SD_b
	.p2align	8
	.type	_ZN9rocsparseL39bsrgeam_block_per_row_multipass_kernel2ILj256ELj32E21rocsparse_complex_numIfEEEv20rocsparse_direction_iiiNS_24const_host_device_scalarIT1_EEPKiS8_PKS5_S6_S8_S8_SA_S8_PiPS5_21rocsparse_index_base_SD_SD_b,@function
_ZN9rocsparseL39bsrgeam_block_per_row_multipass_kernel2ILj256ELj32E21rocsparse_complex_numIfEEEv20rocsparse_direction_iiiNS_24const_host_device_scalarIT1_EEPKiS8_PKS5_S6_S8_S8_SA_S8_PiPS5_21rocsparse_index_base_SD_SD_b: ; @_ZN9rocsparseL39bsrgeam_block_per_row_multipass_kernel2ILj256ELj32E21rocsparse_complex_numIfEEEv20rocsparse_direction_iiiNS_24const_host_device_scalarIT1_EEPKiS8_PKS5_S6_S8_S8_SA_S8_PiPS5_21rocsparse_index_base_SD_SD_b
; %bb.0:
	s_clause 0x2
	s_load_b128 s[4:7], s[0:1], 0x68
	s_load_b64 s[2:3], s[0:1], 0x10
	s_load_b64 s[12:13], s[0:1], 0x30
	s_mov_b32 s8, s15
	s_waitcnt lgkmcnt(0)
	s_bitcmp1_b32 s7, 0
	s_cselect_b32 s7, -1, 0
	s_delay_alu instid0(SALU_CYCLE_1)
	s_xor_b32 s9, s7, -1
	s_and_b32 vcc_lo, exec_lo, s7
	s_mov_b32 s7, s2
	s_cbranch_vccnz .LBB23_2
; %bb.1:
	s_load_b32 s7, s[2:3], 0x0
.LBB23_2:
	v_cndmask_b32_e64 v1, 0, 1, s9
	s_and_not1_b32 vcc_lo, exec_lo, s9
	s_cbranch_vccnz .LBB23_4
; %bb.3:
	s_load_b32 s3, s[2:3], 0x4
.LBB23_4:
	s_clause 0x2
	s_load_b64 s[16:17], s[0:1], 0x18
	s_load_b64 s[10:11], s[0:1], 0x50
	;; [unrolled: 1-line block ×3, first 2 shown]
	v_cmp_ne_u32_e32 vcc_lo, 1, v1
	s_mov_b32 s2, s12
	s_cbranch_vccnz .LBB23_6
; %bb.5:
	s_load_b32 s2, s[12:13], 0x0
.LBB23_6:
	s_load_b64 s[14:15], s[0:1], 0x20
	v_cmp_ne_u32_e32 vcc_lo, 1, v1
	s_cbranch_vccnz .LBB23_8
; %bb.7:
	s_load_b32 s13, s[12:13], 0x4
.LBB23_8:
	s_ashr_i32 s9, s8, 31
	s_delay_alu instid0(SALU_CYCLE_1)
	s_lshl_b64 s[8:9], s[8:9], 2
	s_waitcnt lgkmcnt(0)
	s_add_u32 s16, s16, s8
	s_addc_u32 s17, s17, s9
	s_load_b64 s[28:29], s[16:17], 0x0
	s_load_b64 s[16:17], s[0:1], 0x8
	s_waitcnt lgkmcnt(0)
	s_sub_i32 s18, s28, s4
	s_add_u32 s22, s20, s8
	s_addc_u32 s23, s21, s9
	s_load_b64 s[20:21], s[0:1], 0x40
	s_load_b64 s[30:31], s[22:23], 0x0
	s_add_u32 s26, s10, s8
	s_addc_u32 s27, s11, s9
	s_cmp_ge_i32 s28, s29
	s_mov_b32 s19, s16
	s_cbranch_scc1 .LBB23_10
; %bb.9:
	s_ashr_i32 s19, s18, 31
	s_delay_alu instid0(SALU_CYCLE_1) | instskip(NEXT) | instid1(SALU_CYCLE_1)
	s_lshl_b64 s[8:9], s[18:19], 2
	s_add_u32 s8, s14, s8
	s_addc_u32 s9, s15, s9
	s_load_b32 s8, s[8:9], 0x0
	s_waitcnt lgkmcnt(0)
	s_sub_i32 s19, s8, s4
.LBB23_10:
	s_clause 0x2
	s_load_b128 s[8:11], s[0:1], 0x58
	s_load_b64 s[22:23], s[0:1], 0x28
	s_load_b64 s[24:25], s[0:1], 0x48
	s_load_b32 s28, s[26:27], 0x0
	s_waitcnt lgkmcnt(0)
	s_sub_i32 s26, s30, s5
	s_cmp_ge_i32 s30, s31
	s_mov_b32 s27, s16
	s_cbranch_scc1 .LBB23_12
; %bb.11:
	s_ashr_i32 s27, s26, 31
	s_delay_alu instid0(SALU_CYCLE_1) | instskip(NEXT) | instid1(SALU_CYCLE_1)
	s_lshl_b64 s[34:35], s[26:27], 2
	s_add_u32 s34, s20, s34
	s_addc_u32 s35, s21, s35
	s_load_b32 s12, s[34:35], 0x0
	s_waitcnt lgkmcnt(0)
	s_sub_i32 s27, s12, s5
.LBB23_12:
	s_load_b32 s33, s[0:1], 0x0
	v_dual_mov_b32 v2, 0 :: v_dual_and_b32 v5, 7, v0
	v_lshrrev_b32_e32 v0, 3, v0
	s_mov_b32 s36, 0
	s_sub_i32 s12, s29, s4
	s_delay_alu instid0(VALU_DEP_2)
	v_or_b32_e32 v6, 8, v5
	s_mov_b32 s37, s36
	v_lshlrev_b32_e32 v1, 5, v0
	v_cmp_gt_i32_e32 vcc_lo, s17, v0
	v_cmp_gt_u32_e64 s0, s17, v5
	v_or_b32_e32 v8, 16, v5
	v_or_b32_e32 v10, 24, v5
	v_cmp_gt_u32_e64 s1, s17, v6
	v_dual_mov_b32 v3, s36 :: v_dual_mov_b32 v18, 1
	s_sub_i32 s30, s31, s5
	s_sub_i32 s28, s28, s6
	s_min_i32 s29, s27, s19
	v_mov_b32_e32 v4, s37
	v_or_b32_e32 v9, v1, v5
	s_waitcnt lgkmcnt(0)
	s_cmp_lg_u32 s33, 0
	v_lshl_or_b32 v7, v5, 5, v0
	s_cselect_b32 s31, -1, 0
	s_and_b32 s33, vcc_lo, s0
	s_and_b32 s34, vcc_lo, s1
	v_cmp_gt_u32_e64 s0, s17, v8
	v_cmp_gt_u32_e64 s1, s17, v10
	v_lshl_or_b32 v11, v6, 5, v0
	v_lshlrev_b32_e32 v12, 3, v9
	v_or_b32_e32 v13, v6, v1
	v_lshl_or_b32 v14, v8, 5, v0
	v_or_b32_e32 v15, v8, v1
	v_lshl_or_b32 v16, v10, 5, v0
	v_or_b32_e32 v17, v10, v1
	s_and_b32 s35, vcc_lo, s0
	s_and_b32 s36, vcc_lo, s1
	s_mul_i32 s37, s17, s17
	s_branch .LBB23_16
.LBB23_13:                              ;   in Loop: Header=BB23_16 Depth=1
	s_delay_alu instid0(VALU_DEP_1) | instskip(NEXT) | instid1(VALU_DEP_2)
	v_lshlrev_b32_e32 v19, 3, v20
	v_lshlrev_b64 v[21:22], 3, v[1:2]
	ds_load_b64 v[19:20], v19
	v_add_co_u32 v21, vcc_lo, s10, v21
	v_add_co_ci_u32_e32 v22, vcc_lo, s11, v22, vcc_lo
	s_waitcnt lgkmcnt(0)
	global_store_b64 v[21:22], v[19:20], off
.LBB23_14:                              ;   in Loop: Header=BB23_16 Depth=1
	s_or_b32 exec_lo, exec_lo, s1
.LBB23_15:                              ;   in Loop: Header=BB23_16 Depth=1
	s_waitcnt_vscnt null, 0x0
	s_barrier
	buffer_gl0_inv
	ds_load_b32 v1, v2 offset:8192
	s_mov_b32 s29, s27
	s_waitcnt lgkmcnt(0)
	s_barrier
	buffer_gl0_inv
	v_readfirstlane_b32 s0, v1
	s_delay_alu instid0(VALU_DEP_1)
	s_add_i32 s28, s0, s28
	s_cmp_lt_i32 s27, s16
	s_cbranch_scc0 .LBB23_108
.LBB23_16:                              ; =>This Loop Header: Depth=1
                                        ;     Child Loop BB23_19 Depth 2
                                        ;     Child Loop BB23_53 Depth 2
	s_cmp_ge_i32 s18, s12
	ds_store_b32 v2, v2 offset:8192
	ds_store_2addr_b64 v12, v[3:4], v[3:4] offset1:8
	ds_store_2addr_b64 v12, v[3:4], v[3:4] offset0:16 offset1:24
	s_waitcnt lgkmcnt(0)
	s_barrier
	buffer_gl0_inv
	s_cbranch_scc1 .LBB23_49
; %bb.17:                               ;   in Loop: Header=BB23_16 Depth=1
	s_mul_i32 s0, s17, s18
	s_ashr_i32 s19, s18, 31
	v_add_nc_u32_e32 v1, s0, v5
	v_dual_mov_b32 v23, v0 :: v_dual_add_nc_u32 v20, s0, v6
	v_add_nc_u32_e32 v21, s0, v8
	v_add_nc_u32_e32 v22, s0, v10
	s_delay_alu instid0(VALU_DEP_4) | instskip(NEXT) | instid1(VALU_DEP_4)
	v_mul_lo_u32 v19, s17, v1
	v_mul_lo_u32 v20, s17, v20
	s_lshl_b64 s[0:1], s[18:19], 2
	v_mul_lo_u32 v21, s17, v21
	v_mul_lo_u32 v22, s17, v22
	s_add_u32 s0, s14, s0
	s_addc_u32 s1, s15, s1
	s_mov_b32 s27, s16
	s_branch .LBB23_19
.LBB23_18:                              ;   in Loop: Header=BB23_19 Depth=2
	s_add_i32 s18, s18, 1
	s_add_u32 s0, s0, 4
	v_add_nc_u32_e32 v23, s37, v23
	s_addc_u32 s1, s1, 0
	s_cmp_ge_i32 s18, s12
	s_cselect_b32 s27, -1, 0
	s_delay_alu instid0(SALU_CYCLE_1)
	s_and_not1_b32 vcc_lo, exec_lo, s27
	s_mov_b32 s27, s19
	s_cbranch_vccz .LBB23_50
.LBB23_19:                              ;   Parent Loop BB23_16 Depth=1
                                        ; =>  This Inner Loop Header: Depth=2
	s_load_b32 s19, s[0:1], 0x0
	s_mov_b32 s39, -1
	s_waitcnt lgkmcnt(0)
	s_sub_i32 s40, s19, s4
                                        ; implicit-def: $sgpr19
	s_delay_alu instid0(SALU_CYCLE_1)
	s_cmp_eq_u32 s40, s29
	s_cselect_b32 s38, -1, 0
	s_cmp_lg_u32 s40, s29
	s_cbranch_scc1 .LBB23_22
; %bb.20:                               ;   in Loop: Header=BB23_19 Depth=2
	s_and_not1_b32 vcc_lo, exec_lo, s39
	s_cbranch_vccz .LBB23_23
.LBB23_21:                              ;   in Loop: Header=BB23_19 Depth=2
	s_and_not1_b32 vcc_lo, exec_lo, s38
	s_cbranch_vccz .LBB23_18
	s_branch .LBB23_44
.LBB23_22:                              ;   in Loop: Header=BB23_19 Depth=2
	s_min_i32 s19, s40, s27
	s_cbranch_execnz .LBB23_21
.LBB23_23:                              ;   in Loop: Header=BB23_19 Depth=2
	v_mad_u64_u32 v[24:25], null, s18, s17, v[0:1]
	ds_store_b32 v2, v18 offset:8192
	v_mul_lo_u32 v24, v24, s17
	s_and_saveexec_b32 s19, s33
	s_cbranch_execnz .LBB23_27
; %bb.24:                               ;   in Loop: Header=BB23_19 Depth=2
	s_or_b32 exec_lo, exec_lo, s19
	s_and_saveexec_b32 s19, s34
	s_cbranch_execnz .LBB23_31
.LBB23_25:                              ;   in Loop: Header=BB23_19 Depth=2
	s_or_b32 exec_lo, exec_lo, s19
	s_and_saveexec_b32 s19, s35
	s_cbranch_execnz .LBB23_35
.LBB23_26:                              ;   in Loop: Header=BB23_19 Depth=2
	s_or_b32 exec_lo, exec_lo, s19
	s_and_saveexec_b32 s19, s36
	s_cbranch_execnz .LBB23_39
	s_branch .LBB23_43
.LBB23_27:                              ;   in Loop: Header=BB23_19 Depth=2
	s_and_b32 vcc_lo, exec_lo, s31
	s_cbranch_vccz .LBB23_45
; %bb.28:                               ;   in Loop: Header=BB23_19 Depth=2
	v_add_nc_u32_e32 v1, v19, v23
	v_mov_b32_e32 v25, v7
	s_cbranch_execnz .LBB23_30
.LBB23_29:                              ;   in Loop: Header=BB23_19 Depth=2
	s_delay_alu instid0(VALU_DEP_2)
	v_add_nc_u32_e32 v1, v24, v5
	v_mov_b32_e32 v25, v9
.LBB23_30:                              ;   in Loop: Header=BB23_19 Depth=2
	s_delay_alu instid0(VALU_DEP_2) | instskip(NEXT) | instid1(VALU_DEP_2)
	v_lshlrev_b64 v[26:27], 3, v[1:2]
	v_lshlrev_b32_e32 v1, 3, v25
	s_delay_alu instid0(VALU_DEP_2) | instskip(NEXT) | instid1(VALU_DEP_3)
	v_add_co_u32 v26, vcc_lo, s22, v26
	v_add_co_ci_u32_e32 v27, vcc_lo, s23, v27, vcc_lo
	global_load_b64 v[26:27], v[26:27], off
	s_waitcnt vmcnt(0)
	v_mul_f32_e64 v28, v27, -s3
	s_delay_alu instid0(VALU_DEP_1) | instskip(NEXT) | instid1(VALU_DEP_1)
	v_dual_mul_f32 v29, s7, v27 :: v_dual_fmac_f32 v28, s7, v26
	v_fmac_f32_e32 v29, s3, v26
	ds_store_b64 v1, v[28:29]
	s_or_b32 exec_lo, exec_lo, s19
	s_and_saveexec_b32 s19, s34
	s_cbranch_execz .LBB23_25
.LBB23_31:                              ;   in Loop: Header=BB23_19 Depth=2
	s_and_not1_b32 vcc_lo, exec_lo, s31
	s_cbranch_vccnz .LBB23_46
; %bb.32:                               ;   in Loop: Header=BB23_19 Depth=2
	v_add_nc_u32_e32 v1, v20, v23
	v_mov_b32_e32 v25, v11
	s_cbranch_execnz .LBB23_34
.LBB23_33:                              ;   in Loop: Header=BB23_19 Depth=2
	v_add_nc_u32_e32 v1, v24, v6
	v_mov_b32_e32 v25, v13
.LBB23_34:                              ;   in Loop: Header=BB23_19 Depth=2
	s_delay_alu instid0(VALU_DEP_2) | instskip(NEXT) | instid1(VALU_DEP_2)
	v_lshlrev_b64 v[26:27], 3, v[1:2]
	v_lshlrev_b32_e32 v1, 3, v25
	s_delay_alu instid0(VALU_DEP_2) | instskip(NEXT) | instid1(VALU_DEP_3)
	v_add_co_u32 v26, vcc_lo, s22, v26
	v_add_co_ci_u32_e32 v27, vcc_lo, s23, v27, vcc_lo
	global_load_b64 v[26:27], v[26:27], off
	s_waitcnt vmcnt(0)
	v_mul_f32_e64 v28, v27, -s3
	s_delay_alu instid0(VALU_DEP_1) | instskip(NEXT) | instid1(VALU_DEP_1)
	v_dual_mul_f32 v29, s7, v27 :: v_dual_fmac_f32 v28, s7, v26
	v_fmac_f32_e32 v29, s3, v26
	ds_store_b64 v1, v[28:29]
	s_or_b32 exec_lo, exec_lo, s19
	s_and_saveexec_b32 s19, s35
	s_cbranch_execz .LBB23_26
.LBB23_35:                              ;   in Loop: Header=BB23_19 Depth=2
	s_and_not1_b32 vcc_lo, exec_lo, s31
	s_cbranch_vccnz .LBB23_47
; %bb.36:                               ;   in Loop: Header=BB23_19 Depth=2
	v_add_nc_u32_e32 v1, v21, v23
	v_mov_b32_e32 v25, v14
	s_cbranch_execnz .LBB23_38
.LBB23_37:                              ;   in Loop: Header=BB23_19 Depth=2
	v_add_nc_u32_e32 v1, v24, v8
	v_mov_b32_e32 v25, v15
.LBB23_38:                              ;   in Loop: Header=BB23_19 Depth=2
	s_delay_alu instid0(VALU_DEP_2) | instskip(NEXT) | instid1(VALU_DEP_2)
	v_lshlrev_b64 v[26:27], 3, v[1:2]
	v_lshlrev_b32_e32 v1, 3, v25
	s_delay_alu instid0(VALU_DEP_2) | instskip(NEXT) | instid1(VALU_DEP_3)
	v_add_co_u32 v26, vcc_lo, s22, v26
	v_add_co_ci_u32_e32 v27, vcc_lo, s23, v27, vcc_lo
	global_load_b64 v[26:27], v[26:27], off
	s_waitcnt vmcnt(0)
	v_mul_f32_e64 v28, v27, -s3
	s_delay_alu instid0(VALU_DEP_1) | instskip(NEXT) | instid1(VALU_DEP_1)
	v_dual_mul_f32 v29, s7, v27 :: v_dual_fmac_f32 v28, s7, v26
	v_fmac_f32_e32 v29, s3, v26
	ds_store_b64 v1, v[28:29]
	s_or_b32 exec_lo, exec_lo, s19
	s_and_saveexec_b32 s19, s36
	s_cbranch_execz .LBB23_43
.LBB23_39:                              ;   in Loop: Header=BB23_19 Depth=2
	s_and_not1_b32 vcc_lo, exec_lo, s31
	s_cbranch_vccnz .LBB23_48
; %bb.40:                               ;   in Loop: Header=BB23_19 Depth=2
	v_add_nc_u32_e32 v1, v22, v23
	v_mov_b32_e32 v25, v16
	s_cbranch_execnz .LBB23_42
.LBB23_41:                              ;   in Loop: Header=BB23_19 Depth=2
	v_add_nc_u32_e32 v1, v24, v10
	v_mov_b32_e32 v25, v17
.LBB23_42:                              ;   in Loop: Header=BB23_19 Depth=2
	s_delay_alu instid0(VALU_DEP_2) | instskip(NEXT) | instid1(VALU_DEP_2)
	v_lshlrev_b64 v[26:27], 3, v[1:2]
	v_lshlrev_b32_e32 v1, 3, v25
	s_delay_alu instid0(VALU_DEP_2) | instskip(NEXT) | instid1(VALU_DEP_3)
	v_add_co_u32 v26, vcc_lo, s22, v26
	v_add_co_ci_u32_e32 v27, vcc_lo, s23, v27, vcc_lo
	global_load_b64 v[26:27], v[26:27], off
	s_waitcnt vmcnt(0)
	v_mul_f32_e64 v28, v27, -s3
	s_delay_alu instid0(VALU_DEP_1) | instskip(NEXT) | instid1(VALU_DEP_1)
	v_dual_mul_f32 v29, s7, v27 :: v_dual_fmac_f32 v28, s7, v26
	v_fmac_f32_e32 v29, s3, v26
	ds_store_b64 v1, v[28:29]
.LBB23_43:                              ;   in Loop: Header=BB23_19 Depth=2
	s_or_b32 exec_lo, exec_lo, s19
	s_mov_b32 s19, s27
	s_and_not1_b32 vcc_lo, exec_lo, s38
	s_cbranch_vccz .LBB23_18
.LBB23_44:                              ;   in Loop: Header=BB23_16 Depth=1
                                        ; implicit-def: $vgpr23
                                        ; implicit-def: $sgpr0_sgpr1
	s_mov_b32 s27, s19
	s_branch .LBB23_50
.LBB23_45:                              ;   in Loop: Header=BB23_19 Depth=2
	v_mov_b32_e32 v25, v7
	s_branch .LBB23_29
.LBB23_46:                              ;   in Loop: Header=BB23_19 Depth=2
	v_mov_b32_e32 v25, v11
	s_branch .LBB23_33
.LBB23_47:                              ;   in Loop: Header=BB23_19 Depth=2
	v_mov_b32_e32 v25, v14
	s_branch .LBB23_37
.LBB23_48:                              ;   in Loop: Header=BB23_19 Depth=2
	v_mov_b32_e32 v25, v16
	s_branch .LBB23_41
.LBB23_49:                              ;   in Loop: Header=BB23_16 Depth=1
	s_mov_b32 s19, s16
.LBB23_50:                              ;   in Loop: Header=BB23_16 Depth=1
	s_cmp_ge_i32 s26, s30
	s_waitcnt lgkmcnt(0)
	s_barrier
	buffer_gl0_inv
	s_cbranch_scc1 .LBB23_83
; %bb.51:                               ;   in Loop: Header=BB23_16 Depth=1
	s_mul_i32 s0, s17, s26
	s_ashr_i32 s27, s26, 31
	v_add_nc_u32_e32 v1, s0, v5
	v_dual_mov_b32 v23, v0 :: v_dual_add_nc_u32 v20, s0, v6
	v_add_nc_u32_e32 v21, s0, v8
	v_add_nc_u32_e32 v22, s0, v10
	s_delay_alu instid0(VALU_DEP_4) | instskip(NEXT) | instid1(VALU_DEP_4)
	v_mul_lo_u32 v19, s17, v1
	v_mul_lo_u32 v20, s17, v20
	s_lshl_b64 s[0:1], s[26:27], 2
	v_mul_lo_u32 v21, s17, v21
	v_mul_lo_u32 v22, s17, v22
	s_add_u32 s0, s20, s0
	s_addc_u32 s1, s21, s1
	s_branch .LBB23_53
.LBB23_52:                              ;   in Loop: Header=BB23_53 Depth=2
	s_add_i32 s26, s26, 1
	s_add_u32 s0, s0, 4
	v_add_nc_u32_e32 v23, s37, v23
	s_addc_u32 s1, s1, 0
	s_cmp_ge_i32 s26, s30
	s_cselect_b32 s19, -1, 0
	s_delay_alu instid0(SALU_CYCLE_1)
	s_and_not1_b32 vcc_lo, exec_lo, s19
	s_mov_b32 s19, s27
	s_cbranch_vccz .LBB23_84
.LBB23_53:                              ;   Parent Loop BB23_16 Depth=1
                                        ; =>  This Inner Loop Header: Depth=2
	s_load_b32 s27, s[0:1], 0x0
	s_mov_b32 s39, -1
	s_waitcnt lgkmcnt(0)
	s_sub_i32 s40, s27, s5
                                        ; implicit-def: $sgpr27
	s_delay_alu instid0(SALU_CYCLE_1)
	s_cmp_eq_u32 s40, s29
	s_cselect_b32 s38, -1, 0
	s_cmp_lg_u32 s40, s29
	s_cbranch_scc1 .LBB23_56
; %bb.54:                               ;   in Loop: Header=BB23_53 Depth=2
	s_and_not1_b32 vcc_lo, exec_lo, s39
	s_cbranch_vccz .LBB23_57
.LBB23_55:                              ;   in Loop: Header=BB23_53 Depth=2
	s_and_not1_b32 vcc_lo, exec_lo, s38
	s_cbranch_vccz .LBB23_52
	s_branch .LBB23_78
.LBB23_56:                              ;   in Loop: Header=BB23_53 Depth=2
	s_min_i32 s27, s40, s19
	s_cbranch_execnz .LBB23_55
.LBB23_57:                              ;   in Loop: Header=BB23_53 Depth=2
	v_mad_u64_u32 v[24:25], null, s26, s17, v[0:1]
	ds_store_b32 v2, v18 offset:8192
	v_mul_lo_u32 v24, v24, s17
	s_and_saveexec_b32 s27, s33
	s_cbranch_execnz .LBB23_61
; %bb.58:                               ;   in Loop: Header=BB23_53 Depth=2
	s_or_b32 exec_lo, exec_lo, s27
	s_and_saveexec_b32 s27, s34
	s_cbranch_execnz .LBB23_65
.LBB23_59:                              ;   in Loop: Header=BB23_53 Depth=2
	s_or_b32 exec_lo, exec_lo, s27
	s_and_saveexec_b32 s27, s35
	s_cbranch_execnz .LBB23_69
.LBB23_60:                              ;   in Loop: Header=BB23_53 Depth=2
	s_or_b32 exec_lo, exec_lo, s27
	s_and_saveexec_b32 s27, s36
	s_cbranch_execnz .LBB23_73
	s_branch .LBB23_77
.LBB23_61:                              ;   in Loop: Header=BB23_53 Depth=2
	s_and_b32 vcc_lo, exec_lo, s31
	s_cbranch_vccz .LBB23_79
; %bb.62:                               ;   in Loop: Header=BB23_53 Depth=2
	v_add_nc_u32_e32 v1, v19, v23
	v_mov_b32_e32 v25, v7
	s_cbranch_execnz .LBB23_64
.LBB23_63:                              ;   in Loop: Header=BB23_53 Depth=2
	s_delay_alu instid0(VALU_DEP_2)
	v_add_nc_u32_e32 v1, v24, v5
	v_mov_b32_e32 v25, v9
.LBB23_64:                              ;   in Loop: Header=BB23_53 Depth=2
	s_delay_alu instid0(VALU_DEP_2) | instskip(NEXT) | instid1(VALU_DEP_2)
	v_lshlrev_b64 v[26:27], 3, v[1:2]
	v_lshlrev_b32_e32 v1, 3, v25
	ds_load_b64 v[28:29], v1
	v_add_co_u32 v26, vcc_lo, s24, v26
	v_add_co_ci_u32_e32 v27, vcc_lo, s25, v27, vcc_lo
	global_load_b64 v[26:27], v[26:27], off
	s_waitcnt vmcnt(0) lgkmcnt(0)
	v_fma_f32 v25, s2, v26, v28
	v_fmac_f32_e32 v29, s13, v26
	s_delay_alu instid0(VALU_DEP_2) | instskip(NEXT) | instid1(VALU_DEP_2)
	v_fma_f32 v28, -s13, v27, v25
	v_fmac_f32_e32 v29, s2, v27
	ds_store_b64 v1, v[28:29]
	s_or_b32 exec_lo, exec_lo, s27
	s_and_saveexec_b32 s27, s34
	s_cbranch_execz .LBB23_59
.LBB23_65:                              ;   in Loop: Header=BB23_53 Depth=2
	s_and_not1_b32 vcc_lo, exec_lo, s31
	s_cbranch_vccnz .LBB23_80
; %bb.66:                               ;   in Loop: Header=BB23_53 Depth=2
	v_add_nc_u32_e32 v1, v20, v23
	v_mov_b32_e32 v25, v11
	s_cbranch_execnz .LBB23_68
.LBB23_67:                              ;   in Loop: Header=BB23_53 Depth=2
	v_add_nc_u32_e32 v1, v24, v6
	v_mov_b32_e32 v25, v13
.LBB23_68:                              ;   in Loop: Header=BB23_53 Depth=2
	s_delay_alu instid0(VALU_DEP_2) | instskip(NEXT) | instid1(VALU_DEP_2)
	v_lshlrev_b64 v[26:27], 3, v[1:2]
	v_lshlrev_b32_e32 v1, 3, v25
	ds_load_b64 v[28:29], v1
	v_add_co_u32 v26, vcc_lo, s24, v26
	v_add_co_ci_u32_e32 v27, vcc_lo, s25, v27, vcc_lo
	global_load_b64 v[26:27], v[26:27], off
	s_waitcnt vmcnt(0) lgkmcnt(0)
	v_fma_f32 v25, s2, v26, v28
	v_fmac_f32_e32 v29, s13, v26
	s_delay_alu instid0(VALU_DEP_2) | instskip(NEXT) | instid1(VALU_DEP_2)
	v_fma_f32 v28, -s13, v27, v25
	v_fmac_f32_e32 v29, s2, v27
	ds_store_b64 v1, v[28:29]
	s_or_b32 exec_lo, exec_lo, s27
	s_and_saveexec_b32 s27, s35
	s_cbranch_execz .LBB23_60
.LBB23_69:                              ;   in Loop: Header=BB23_53 Depth=2
	s_and_not1_b32 vcc_lo, exec_lo, s31
	s_cbranch_vccnz .LBB23_81
; %bb.70:                               ;   in Loop: Header=BB23_53 Depth=2
	v_add_nc_u32_e32 v1, v21, v23
	v_mov_b32_e32 v25, v14
	s_cbranch_execnz .LBB23_72
.LBB23_71:                              ;   in Loop: Header=BB23_53 Depth=2
	v_add_nc_u32_e32 v1, v24, v8
	v_mov_b32_e32 v25, v15
.LBB23_72:                              ;   in Loop: Header=BB23_53 Depth=2
	s_delay_alu instid0(VALU_DEP_2) | instskip(NEXT) | instid1(VALU_DEP_2)
	v_lshlrev_b64 v[26:27], 3, v[1:2]
	v_lshlrev_b32_e32 v1, 3, v25
	ds_load_b64 v[28:29], v1
	v_add_co_u32 v26, vcc_lo, s24, v26
	v_add_co_ci_u32_e32 v27, vcc_lo, s25, v27, vcc_lo
	global_load_b64 v[26:27], v[26:27], off
	s_waitcnt vmcnt(0) lgkmcnt(0)
	v_fma_f32 v25, s2, v26, v28
	v_fmac_f32_e32 v29, s13, v26
	s_delay_alu instid0(VALU_DEP_2) | instskip(NEXT) | instid1(VALU_DEP_2)
	v_fma_f32 v28, -s13, v27, v25
	v_fmac_f32_e32 v29, s2, v27
	ds_store_b64 v1, v[28:29]
	s_or_b32 exec_lo, exec_lo, s27
	s_and_saveexec_b32 s27, s36
	s_cbranch_execz .LBB23_77
.LBB23_73:                              ;   in Loop: Header=BB23_53 Depth=2
	s_and_not1_b32 vcc_lo, exec_lo, s31
	s_cbranch_vccnz .LBB23_82
; %bb.74:                               ;   in Loop: Header=BB23_53 Depth=2
	v_add_nc_u32_e32 v1, v22, v23
	v_mov_b32_e32 v25, v16
	s_cbranch_execnz .LBB23_76
.LBB23_75:                              ;   in Loop: Header=BB23_53 Depth=2
	v_add_nc_u32_e32 v1, v24, v10
	v_mov_b32_e32 v25, v17
.LBB23_76:                              ;   in Loop: Header=BB23_53 Depth=2
	s_delay_alu instid0(VALU_DEP_2) | instskip(NEXT) | instid1(VALU_DEP_2)
	v_lshlrev_b64 v[26:27], 3, v[1:2]
	v_lshlrev_b32_e32 v1, 3, v25
	ds_load_b64 v[24:25], v1
	v_add_co_u32 v26, vcc_lo, s24, v26
	v_add_co_ci_u32_e32 v27, vcc_lo, s25, v27, vcc_lo
	global_load_b64 v[26:27], v[26:27], off
	s_waitcnt vmcnt(0) lgkmcnt(0)
	v_fma_f32 v24, s2, v26, v24
	v_fmac_f32_e32 v25, s13, v26
	s_delay_alu instid0(VALU_DEP_2) | instskip(NEXT) | instid1(VALU_DEP_2)
	v_fma_f32 v24, -s13, v27, v24
	v_fmac_f32_e32 v25, s2, v27
	ds_store_b64 v1, v[24:25]
.LBB23_77:                              ;   in Loop: Header=BB23_53 Depth=2
	s_or_b32 exec_lo, exec_lo, s27
	s_mov_b32 s27, s19
	s_and_not1_b32 vcc_lo, exec_lo, s38
	s_cbranch_vccz .LBB23_52
.LBB23_78:                              ;   in Loop: Header=BB23_16 Depth=1
                                        ; implicit-def: $vgpr23
                                        ; implicit-def: $sgpr0_sgpr1
	s_mov_b32 s19, s27
	s_branch .LBB23_84
.LBB23_79:                              ;   in Loop: Header=BB23_53 Depth=2
	v_mov_b32_e32 v25, v7
	s_branch .LBB23_63
.LBB23_80:                              ;   in Loop: Header=BB23_53 Depth=2
	v_mov_b32_e32 v25, v11
	s_branch .LBB23_67
.LBB23_81:                              ;   in Loop: Header=BB23_53 Depth=2
	v_mov_b32_e32 v25, v14
	s_branch .LBB23_71
.LBB23_82:                              ;   in Loop: Header=BB23_53 Depth=2
	v_mov_b32_e32 v25, v16
	s_branch .LBB23_75
.LBB23_83:                              ;   in Loop: Header=BB23_16 Depth=1
	s_mov_b32 s27, s19
.LBB23_84:                              ;   in Loop: Header=BB23_16 Depth=1
	s_waitcnt lgkmcnt(0)
	s_barrier
	buffer_gl0_inv
	ds_load_b32 v1, v2 offset:8192
	s_waitcnt lgkmcnt(0)
	v_cmp_eq_u32_e32 vcc_lo, 0, v1
	s_cbranch_vccnz .LBB23_15
; %bb.85:                               ;   in Loop: Header=BB23_16 Depth=1
	s_mul_i32 s0, s28, s17
	s_add_i32 s1, s29, s6
	v_add_nc_u32_e32 v1, s0, v0
	s_ashr_i32 s29, s28, 31
	s_delay_alu instid0(SALU_CYCLE_1) | instskip(NEXT) | instid1(SALU_CYCLE_1)
	s_lshl_b64 s[38:39], s[28:29], 2
	s_add_u32 s38, s8, s38
	s_delay_alu instid0(VALU_DEP_1)
	v_mul_lo_u32 v19, v1, s17
	v_mov_b32_e32 v1, s1
	s_addc_u32 s39, s9, s39
	global_store_b32 v2, v1, s[38:39]
	s_and_saveexec_b32 s1, s33
	s_cbranch_execnz .LBB23_89
; %bb.86:                               ;   in Loop: Header=BB23_16 Depth=1
	s_or_b32 exec_lo, exec_lo, s1
	s_and_saveexec_b32 s1, s34
	s_cbranch_execnz .LBB23_93
.LBB23_87:                              ;   in Loop: Header=BB23_16 Depth=1
	s_or_b32 exec_lo, exec_lo, s1
	s_and_saveexec_b32 s1, s35
	s_cbranch_execnz .LBB23_97
.LBB23_88:                              ;   in Loop: Header=BB23_16 Depth=1
	s_or_b32 exec_lo, exec_lo, s1
	s_and_saveexec_b32 s1, s36
	s_cbranch_execz .LBB23_14
	s_branch .LBB23_101
.LBB23_89:                              ;   in Loop: Header=BB23_16 Depth=1
	s_and_b32 vcc_lo, exec_lo, s31
	s_cbranch_vccz .LBB23_103
; %bb.90:                               ;   in Loop: Header=BB23_16 Depth=1
	v_add_nc_u32_e32 v1, s0, v5
	s_delay_alu instid0(VALU_DEP_1) | instskip(NEXT) | instid1(VALU_DEP_1)
	v_mad_u64_u32 v[20:21], null, v1, s17, v[0:1]
	v_dual_mov_b32 v1, v20 :: v_dual_mov_b32 v20, v7
	s_cbranch_execnz .LBB23_92
.LBB23_91:                              ;   in Loop: Header=BB23_16 Depth=1
	v_dual_mov_b32 v20, v9 :: v_dual_add_nc_u32 v1, v19, v5
.LBB23_92:                              ;   in Loop: Header=BB23_16 Depth=1
	s_delay_alu instid0(VALU_DEP_1) | instskip(NEXT) | instid1(VALU_DEP_2)
	v_lshlrev_b32_e32 v20, 3, v20
	v_lshlrev_b64 v[22:23], 3, v[1:2]
	ds_load_b64 v[20:21], v20
	v_add_co_u32 v22, vcc_lo, s10, v22
	v_add_co_ci_u32_e32 v23, vcc_lo, s11, v23, vcc_lo
	s_waitcnt lgkmcnt(0)
	global_store_b64 v[22:23], v[20:21], off
	s_or_b32 exec_lo, exec_lo, s1
	s_and_saveexec_b32 s1, s34
	s_cbranch_execz .LBB23_87
.LBB23_93:                              ;   in Loop: Header=BB23_16 Depth=1
	s_and_not1_b32 vcc_lo, exec_lo, s31
	s_cbranch_vccnz .LBB23_104
; %bb.94:                               ;   in Loop: Header=BB23_16 Depth=1
	v_add_nc_u32_e32 v1, s0, v6
	s_delay_alu instid0(VALU_DEP_1) | instskip(NEXT) | instid1(VALU_DEP_1)
	v_mad_u64_u32 v[20:21], null, v1, s17, v[0:1]
	v_dual_mov_b32 v1, v20 :: v_dual_mov_b32 v20, v11
	s_cbranch_execnz .LBB23_96
.LBB23_95:                              ;   in Loop: Header=BB23_16 Depth=1
	v_dual_mov_b32 v20, v13 :: v_dual_add_nc_u32 v1, v19, v6
.LBB23_96:                              ;   in Loop: Header=BB23_16 Depth=1
	s_delay_alu instid0(VALU_DEP_1) | instskip(NEXT) | instid1(VALU_DEP_2)
	v_lshlrev_b32_e32 v20, 3, v20
	v_lshlrev_b64 v[22:23], 3, v[1:2]
	ds_load_b64 v[20:21], v20
	v_add_co_u32 v22, vcc_lo, s10, v22
	v_add_co_ci_u32_e32 v23, vcc_lo, s11, v23, vcc_lo
	s_waitcnt lgkmcnt(0)
	global_store_b64 v[22:23], v[20:21], off
	s_or_b32 exec_lo, exec_lo, s1
	s_and_saveexec_b32 s1, s35
	s_cbranch_execz .LBB23_88
.LBB23_97:                              ;   in Loop: Header=BB23_16 Depth=1
	s_and_not1_b32 vcc_lo, exec_lo, s31
	s_cbranch_vccnz .LBB23_105
; %bb.98:                               ;   in Loop: Header=BB23_16 Depth=1
	v_add_nc_u32_e32 v1, s0, v8
	s_delay_alu instid0(VALU_DEP_1) | instskip(NEXT) | instid1(VALU_DEP_1)
	v_mad_u64_u32 v[20:21], null, v1, s17, v[0:1]
	v_dual_mov_b32 v1, v20 :: v_dual_mov_b32 v20, v14
	s_cbranch_execnz .LBB23_100
.LBB23_99:                              ;   in Loop: Header=BB23_16 Depth=1
	v_add_nc_u32_e32 v1, v19, v8
	v_mov_b32_e32 v20, v15
.LBB23_100:                             ;   in Loop: Header=BB23_16 Depth=1
	s_delay_alu instid0(VALU_DEP_1) | instskip(NEXT) | instid1(VALU_DEP_2)
	v_lshlrev_b32_e32 v20, 3, v20
	v_lshlrev_b64 v[22:23], 3, v[1:2]
	ds_load_b64 v[20:21], v20
	v_add_co_u32 v22, vcc_lo, s10, v22
	v_add_co_ci_u32_e32 v23, vcc_lo, s11, v23, vcc_lo
	s_waitcnt lgkmcnt(0)
	global_store_b64 v[22:23], v[20:21], off
	s_or_b32 exec_lo, exec_lo, s1
	s_and_saveexec_b32 s1, s36
	s_cbranch_execz .LBB23_14
.LBB23_101:                             ;   in Loop: Header=BB23_16 Depth=1
	s_and_not1_b32 vcc_lo, exec_lo, s31
	s_cbranch_vccnz .LBB23_106
; %bb.102:                              ;   in Loop: Header=BB23_16 Depth=1
	v_add_nc_u32_e32 v1, s0, v10
	s_delay_alu instid0(VALU_DEP_1) | instskip(NEXT) | instid1(VALU_DEP_1)
	v_mad_u64_u32 v[20:21], null, v1, s17, v[0:1]
	v_mov_b32_e32 v1, v20
	v_mov_b32_e32 v20, v16
	s_cbranch_execnz .LBB23_13
	s_branch .LBB23_107
.LBB23_103:                             ;   in Loop: Header=BB23_16 Depth=1
	v_mov_b32_e32 v20, v7
	s_branch .LBB23_91
.LBB23_104:                             ;   in Loop: Header=BB23_16 Depth=1
	v_mov_b32_e32 v20, v11
	s_branch .LBB23_95
.LBB23_105:                             ;   in Loop: Header=BB23_16 Depth=1
	v_mov_b32_e32 v20, v14
	s_branch .LBB23_99
.LBB23_106:                             ;   in Loop: Header=BB23_16 Depth=1
	v_mov_b32_e32 v20, v16
.LBB23_107:                             ;   in Loop: Header=BB23_16 Depth=1
	v_dual_mov_b32 v20, v17 :: v_dual_add_nc_u32 v1, v19, v10
	s_branch .LBB23_13
.LBB23_108:
	s_endpgm
	.section	.rodata,"a",@progbits
	.p2align	6, 0x0
	.amdhsa_kernel _ZN9rocsparseL39bsrgeam_block_per_row_multipass_kernel2ILj256ELj32E21rocsparse_complex_numIfEEEv20rocsparse_direction_iiiNS_24const_host_device_scalarIT1_EEPKiS8_PKS5_S6_S8_S8_SA_S8_PiPS5_21rocsparse_index_base_SD_SD_b
		.amdhsa_group_segment_fixed_size 8196
		.amdhsa_private_segment_fixed_size 0
		.amdhsa_kernarg_size 120
		.amdhsa_user_sgpr_count 15
		.amdhsa_user_sgpr_dispatch_ptr 0
		.amdhsa_user_sgpr_queue_ptr 0
		.amdhsa_user_sgpr_kernarg_segment_ptr 1
		.amdhsa_user_sgpr_dispatch_id 0
		.amdhsa_user_sgpr_private_segment_size 0
		.amdhsa_wavefront_size32 1
		.amdhsa_uses_dynamic_stack 0
		.amdhsa_enable_private_segment 0
		.amdhsa_system_sgpr_workgroup_id_x 1
		.amdhsa_system_sgpr_workgroup_id_y 0
		.amdhsa_system_sgpr_workgroup_id_z 0
		.amdhsa_system_sgpr_workgroup_info 0
		.amdhsa_system_vgpr_workitem_id 0
		.amdhsa_next_free_vgpr 30
		.amdhsa_next_free_sgpr 41
		.amdhsa_reserve_vcc 1
		.amdhsa_float_round_mode_32 0
		.amdhsa_float_round_mode_16_64 0
		.amdhsa_float_denorm_mode_32 3
		.amdhsa_float_denorm_mode_16_64 3
		.amdhsa_dx10_clamp 1
		.amdhsa_ieee_mode 1
		.amdhsa_fp16_overflow 0
		.amdhsa_workgroup_processor_mode 1
		.amdhsa_memory_ordered 1
		.amdhsa_forward_progress 0
		.amdhsa_shared_vgpr_count 0
		.amdhsa_exception_fp_ieee_invalid_op 0
		.amdhsa_exception_fp_denorm_src 0
		.amdhsa_exception_fp_ieee_div_zero 0
		.amdhsa_exception_fp_ieee_overflow 0
		.amdhsa_exception_fp_ieee_underflow 0
		.amdhsa_exception_fp_ieee_inexact 0
		.amdhsa_exception_int_div_zero 0
	.end_amdhsa_kernel
	.section	.text._ZN9rocsparseL39bsrgeam_block_per_row_multipass_kernel2ILj256ELj32E21rocsparse_complex_numIfEEEv20rocsparse_direction_iiiNS_24const_host_device_scalarIT1_EEPKiS8_PKS5_S6_S8_S8_SA_S8_PiPS5_21rocsparse_index_base_SD_SD_b,"axG",@progbits,_ZN9rocsparseL39bsrgeam_block_per_row_multipass_kernel2ILj256ELj32E21rocsparse_complex_numIfEEEv20rocsparse_direction_iiiNS_24const_host_device_scalarIT1_EEPKiS8_PKS5_S6_S8_S8_SA_S8_PiPS5_21rocsparse_index_base_SD_SD_b,comdat
.Lfunc_end23:
	.size	_ZN9rocsparseL39bsrgeam_block_per_row_multipass_kernel2ILj256ELj32E21rocsparse_complex_numIfEEEv20rocsparse_direction_iiiNS_24const_host_device_scalarIT1_EEPKiS8_PKS5_S6_S8_S8_SA_S8_PiPS5_21rocsparse_index_base_SD_SD_b, .Lfunc_end23-_ZN9rocsparseL39bsrgeam_block_per_row_multipass_kernel2ILj256ELj32E21rocsparse_complex_numIfEEEv20rocsparse_direction_iiiNS_24const_host_device_scalarIT1_EEPKiS8_PKS5_S6_S8_S8_SA_S8_PiPS5_21rocsparse_index_base_SD_SD_b
                                        ; -- End function
	.section	.AMDGPU.csdata,"",@progbits
; Kernel info:
; codeLenInByte = 2900
; NumSgprs: 43
; NumVgprs: 30
; ScratchSize: 0
; MemoryBound: 0
; FloatMode: 240
; IeeeMode: 1
; LDSByteSize: 8196 bytes/workgroup (compile time only)
; SGPRBlocks: 5
; VGPRBlocks: 3
; NumSGPRsForWavesPerEU: 43
; NumVGPRsForWavesPerEU: 30
; Occupancy: 16
; WaveLimiterHint : 1
; COMPUTE_PGM_RSRC2:SCRATCH_EN: 0
; COMPUTE_PGM_RSRC2:USER_SGPR: 15
; COMPUTE_PGM_RSRC2:TRAP_HANDLER: 0
; COMPUTE_PGM_RSRC2:TGID_X_EN: 1
; COMPUTE_PGM_RSRC2:TGID_Y_EN: 0
; COMPUTE_PGM_RSRC2:TGID_Z_EN: 0
; COMPUTE_PGM_RSRC2:TIDIG_COMP_CNT: 0
	.section	.text._ZN9rocsparseL39bsrgeam_wf_per_row_multipass_2_3_kernelILj256ELj2ELj32E21rocsparse_complex_numIdEEEv20rocsparse_direction_iiiNS_24const_host_device_scalarIT2_EEPKiS8_PKS5_S6_S8_S8_SA_S8_PiPS5_21rocsparse_index_base_SD_SD_b,"axG",@progbits,_ZN9rocsparseL39bsrgeam_wf_per_row_multipass_2_3_kernelILj256ELj2ELj32E21rocsparse_complex_numIdEEEv20rocsparse_direction_iiiNS_24const_host_device_scalarIT2_EEPKiS8_PKS5_S6_S8_S8_SA_S8_PiPS5_21rocsparse_index_base_SD_SD_b,comdat
	.globl	_ZN9rocsparseL39bsrgeam_wf_per_row_multipass_2_3_kernelILj256ELj2ELj32E21rocsparse_complex_numIdEEEv20rocsparse_direction_iiiNS_24const_host_device_scalarIT2_EEPKiS8_PKS5_S6_S8_S8_SA_S8_PiPS5_21rocsparse_index_base_SD_SD_b ; -- Begin function _ZN9rocsparseL39bsrgeam_wf_per_row_multipass_2_3_kernelILj256ELj2ELj32E21rocsparse_complex_numIdEEEv20rocsparse_direction_iiiNS_24const_host_device_scalarIT2_EEPKiS8_PKS5_S6_S8_S8_SA_S8_PiPS5_21rocsparse_index_base_SD_SD_b
	.p2align	8
	.type	_ZN9rocsparseL39bsrgeam_wf_per_row_multipass_2_3_kernelILj256ELj2ELj32E21rocsparse_complex_numIdEEEv20rocsparse_direction_iiiNS_24const_host_device_scalarIT2_EEPKiS8_PKS5_S6_S8_S8_SA_S8_PiPS5_21rocsparse_index_base_SD_SD_b,@function
_ZN9rocsparseL39bsrgeam_wf_per_row_multipass_2_3_kernelILj256ELj2ELj32E21rocsparse_complex_numIdEEEv20rocsparse_direction_iiiNS_24const_host_device_scalarIT2_EEPKiS8_PKS5_S6_S8_S8_SA_S8_PiPS5_21rocsparse_index_base_SD_SD_b: ; @_ZN9rocsparseL39bsrgeam_wf_per_row_multipass_2_3_kernelILj256ELj2ELj32E21rocsparse_complex_numIdEEEv20rocsparse_direction_iiiNS_24const_host_device_scalarIT2_EEPKiS8_PKS5_S6_S8_S8_SA_S8_PiPS5_21rocsparse_index_base_SD_SD_b
; %bb.0:
	s_clause 0x1
	s_load_b128 s[4:7], s[2:3], 0x78
	s_load_b128 s[16:19], s[2:3], 0x10
	s_load_b64 s[12:13], s[0:1], 0x4
	s_mov_b64 s[0:1], src_shared_base
	v_and_b32_e32 v6, 0x3ff, v0
	s_load_b128 s[8:11], s[2:3], 0x38
	v_bfe_u32 v2, v0, 10, 10
	v_bfe_u32 v0, v0, 20, 10
	s_waitcnt lgkmcnt(0)
	s_bitcmp1_b32 s7, 0
	v_mov_b32_e32 v10, s18
	s_cselect_b32 s0, -1, 0
	v_mov_b32_e32 v11, s19
	s_and_b32 vcc_lo, s0, exec_lo
	s_cselect_b32 s1, s1, s17
	s_lshr_b32 s7, s12, 16
	v_mov_b32_e32 v5, s1
	s_mul_i32 s7, s7, s13
	s_xor_b32 s1, s0, -1
	v_mul_lo_u32 v1, s7, v6
	s_delay_alu instid0(VALU_DEP_1) | instskip(SKIP_1) | instid1(VALU_DEP_2)
	v_mad_u32_u24 v1, v2, s13, v1
	v_dual_mov_b32 v2, s8 :: v_dual_mov_b32 v3, s9
	v_add_lshl_u32 v7, v1, v0, 3
	v_dual_mov_b32 v0, s16 :: v_dual_mov_b32 v1, s17
	scratch_store_b64 off, v[2:3], off
	v_add_nc_u32_e32 v4, 0x4100, v7
	ds_store_b64 v7, v[0:1] offset:16640
	v_cndmask_b32_e64 v4, s16, v4, s0
	flat_load_b64 v[8:9], v[4:5]
	s_cbranch_vccnz .LBB24_2
; %bb.1:
	v_dual_mov_b32 v0, s16 :: v_dual_mov_b32 v1, s17
	flat_load_b64 v[10:11], v[0:1] offset:8
.LBB24_2:
	s_mov_b64 s[12:13], src_private_base
	s_and_b32 s7, s0, exec_lo
	s_cselect_b32 s7, s13, s9
	s_delay_alu instid0(SALU_CYCLE_1) | instskip(SKIP_2) | instid1(VALU_DEP_2)
	v_dual_mov_b32 v0, 0 :: v_dual_mov_b32 v1, s7
	v_dual_mov_b32 v15, s11 :: v_dual_mov_b32 v14, s10
	s_and_not1_b32 vcc_lo, exec_lo, s1
	v_cndmask_b32_e64 v0, s8, v0, s0
	flat_load_b64 v[12:13], v[0:1]
	s_cbranch_vccnz .LBB24_4
; %bb.3:
	v_dual_mov_b32 v0, s8 :: v_dual_mov_b32 v1, s9
	flat_load_b64 v[14:15], v[0:1] offset:8
.LBB24_4:
	s_load_b128 s[8:11], s[2:3], 0x0
	v_lshrrev_b32_e32 v7, 5, v6
	s_lshl_b32 s0, s15, 3
	s_delay_alu instid0(VALU_DEP_1) | instid1(SALU_CYCLE_1)
	v_and_or_b32 v0, 0x7fffff8, s0, v7
	s_mov_b32 s0, exec_lo
	s_waitcnt lgkmcnt(0)
	s_delay_alu instid0(VALU_DEP_1)
	v_cmpx_gt_i32_e64 s9, v0
	s_cbranch_execz .LBB24_39
; %bb.5:
	s_clause 0x2
	s_load_b128 s[12:15], s[2:3], 0x20
	s_load_b128 s[16:19], s[2:3], 0x48
	s_load_b64 s[0:1], s[2:3], 0x60
	v_lshlrev_b32_e32 v2, 2, v0
	s_waitcnt lgkmcnt(0)
	s_clause 0x2
	global_load_b64 v[0:1], v2, s[12:13]
	global_load_b64 v[4:5], v2, s[16:17]
	global_load_b32 v16, v2, s[0:1]
	s_waitcnt vmcnt(2)
	v_subrev_nc_u32_e32 v2, s4, v0
	v_cmp_lt_i32_e32 vcc_lo, v0, v1
	v_mov_b32_e32 v0, s10
	s_and_saveexec_b32 s0, vcc_lo
	s_cbranch_execz .LBB24_7
; %bb.6:
	v_ashrrev_i32_e32 v3, 31, v2
	s_delay_alu instid0(VALU_DEP_1) | instskip(NEXT) | instid1(VALU_DEP_1)
	v_lshlrev_b64 v[17:18], 2, v[2:3]
	v_add_co_u32 v17, vcc_lo, s14, v17
	s_delay_alu instid0(VALU_DEP_2)
	v_add_co_ci_u32_e32 v18, vcc_lo, s15, v18, vcc_lo
	global_load_b32 v0, v[17:18], off
	s_waitcnt vmcnt(0)
	v_subrev_nc_u32_e32 v0, s4, v0
.LBB24_7:
	s_or_b32 exec_lo, exec_lo, s0
	s_clause 0x2
	s_load_b128 s[20:23], s[2:3], 0x68
	s_load_b64 s[12:13], s[2:3], 0x58
	s_load_b64 s[2:3], s[2:3], 0x30
	s_waitcnt vmcnt(1)
	v_subrev_nc_u32_e32 v3, s5, v4
	v_cmp_lt_i32_e32 vcc_lo, v4, v5
	v_mov_b32_e32 v4, s10
	s_and_saveexec_b32 s0, vcc_lo
	s_cbranch_execz .LBB24_9
; %bb.8:
	v_ashrrev_i32_e32 v4, 31, v3
	s_delay_alu instid0(VALU_DEP_1) | instskip(NEXT) | instid1(VALU_DEP_1)
	v_lshlrev_b64 v[17:18], 2, v[3:4]
	v_add_co_u32 v17, vcc_lo, s18, v17
	s_delay_alu instid0(VALU_DEP_2)
	v_add_co_ci_u32_e32 v18, vcc_lo, s19, v18, vcc_lo
	global_load_b32 v4, v[17:18], off
	s_waitcnt vmcnt(0)
	v_subrev_nc_u32_e32 v4, s5, v4
.LBB24_9:
	s_or_b32 exec_lo, exec_lo, s0
	s_movk_i32 s0, 0xe0
	s_cmp_eq_u32 s8, 0
	v_dual_mov_b32 v21, 0 :: v_dual_lshlrev_b32 v24, 11, v7
	v_and_or_b32 v25, v6, s0, 0x4000
	s_cselect_b32 vcc_lo, -1, 0
	v_and_b32_e32 v6, 31, v6
	v_min_i32_e32 v30, v4, v0
	v_mbcnt_lo_u32_b32 v0, -1, 0
	s_mov_b32 s24, 0
	v_subrev_nc_u32_e32 v26, s4, v1
	v_lshl_or_b32 v29, v6, 6, v24
	s_mov_b32 s25, s24
	v_xor_b32_e32 v1, 16, v0
	s_mov_b32 s26, s24
	s_mov_b32 s27, s24
	v_add_nc_u32_e32 v18, v3, v6
	v_or_b32_e32 v3, 16, v29
	v_or_b32_e32 v4, 32, v29
	s_waitcnt vmcnt(0)
	v_subrev_nc_u32_e32 v28, s6, v16
	v_cmp_gt_i32_e64 s0, 32, v1
	v_subrev_nc_u32_e32 v27, s5, v5
	v_xor_b32_e32 v5, 2, v0
	v_dual_cndmask_b32 v39, v4, v3 :: v_dual_add_nc_u32 v16, v2, v6
	v_xor_b32_e32 v2, 31, v6
	v_cndmask_b32_e64 v1, v0, v1, s0
	v_xor_b32_e32 v7, 1, v0
	v_cndmask_b32_e32 v40, v3, v4, vcc_lo
	v_add_nc_u32_e32 v32, s6, v6
	v_lshrrev_b32_e64 v31, v2, -1
	v_xor_b32_e32 v2, 8, v0
	v_lshlrev_b32_e32 v33, 2, v1
	v_xor_b32_e32 v1, 4, v0
	v_or_b32_e32 v34, 48, v29
	v_dual_mov_b32 v42, 1 :: v_dual_add_nc_u32 v41, v25, v6
	v_cmp_gt_i32_e64 s0, 32, v2
	s_cmp_lg_u32 s8, 0
	s_cselect_b32 s1, -1, 0
	s_delay_alu instid0(VALU_DEP_1) | instskip(SKIP_1) | instid1(VALU_DEP_2)
	v_cndmask_b32_e64 v2, v0, v2, s0
	v_cmp_gt_i32_e64 s0, 32, v1
	v_lshlrev_b32_e32 v35, 2, v2
	s_delay_alu instid0(VALU_DEP_2) | instskip(SKIP_1) | instid1(VALU_DEP_2)
	v_cndmask_b32_e64 v1, v0, v1, s0
	v_cmp_gt_i32_e64 s0, 32, v5
	v_lshlrev_b32_e32 v36, 2, v1
	s_delay_alu instid0(VALU_DEP_2) | instskip(SKIP_1) | instid1(VALU_DEP_2)
	v_cndmask_b32_e64 v5, v0, v5, s0
	v_cmp_gt_i32_e64 s0, 32, v7
	v_lshlrev_b32_e32 v37, 2, v5
	s_delay_alu instid0(VALU_DEP_2) | instskip(NEXT) | instid1(VALU_DEP_1)
	v_cndmask_b32_e64 v0, v0, v7, s0
	v_lshlrev_b32_e32 v38, 2, v0
	v_mov_b32_e32 v0, s24
	v_dual_mov_b32 v2, s26 :: v_dual_mov_b32 v1, s25
	v_mov_b32_e32 v3, s27
	s_branch .LBB24_11
.LBB24_10:                              ;   in Loop: Header=BB24_11 Depth=1
	s_or_b32 exec_lo, exec_lo, s6
	ds_bpermute_b32 v4, v33, v43
	s_bcnt1_i32_b32 s6, vcc_lo
	s_delay_alu instid0(SALU_CYCLE_1)
	v_add_nc_u32_e32 v28, s6, v28
	s_waitcnt lgkmcnt(0)
	v_min_i32_e32 v4, v4, v43
	ds_bpermute_b32 v5, v35, v4
	s_waitcnt lgkmcnt(0)
	v_min_i32_e32 v4, v5, v4
	ds_bpermute_b32 v5, v36, v4
	;; [unrolled: 3-line block ×4, first 2 shown]
	s_waitcnt lgkmcnt(0)
	v_min_i32_e32 v30, v5, v4
	s_delay_alu instid0(VALU_DEP_1) | instskip(NEXT) | instid1(VALU_DEP_1)
	v_cmp_le_i32_e64 s0, s10, v30
	s_or_b32 s24, s0, s24
	s_delay_alu instid0(SALU_CYCLE_1)
	s_and_not1_b32 exec_lo, exec_lo, s24
	s_cbranch_execz .LBB24_39
.LBB24_11:                              ; =>This Loop Header: Depth=1
                                        ;     Child Loop BB24_14 Depth 2
                                        ;     Child Loop BB24_27 Depth 2
	v_mov_b32_e32 v43, s10
	s_mov_b32 s6, exec_lo
	ds_store_b8 v41, v21
	ds_store_b128 v29, v[0:3]
	ds_store_b128 v29, v[0:3] offset:16
	ds_store_b128 v29, v[0:3] offset:32
	ds_store_b128 v29, v[0:3] offset:48
	s_waitcnt lgkmcnt(0)
	s_waitcnt_vscnt null, 0x0
	buffer_gl0_inv
	v_cmpx_lt_i32_e64 v16, v26
	s_cbranch_execz .LBB24_24
; %bb.12:                               ;   in Loop: Header=BB24_11 Depth=1
	v_dual_mov_b32 v43, s10 :: v_dual_lshlrev_b32 v20, 2, v16
	s_mov_b32 s7, 0
	s_branch .LBB24_14
.LBB24_13:                              ;   in Loop: Header=BB24_14 Depth=2
	s_or_b32 exec_lo, exec_lo, s9
	s_delay_alu instid0(SALU_CYCLE_1) | instskip(NEXT) | instid1(SALU_CYCLE_1)
	s_and_b32 s0, exec_lo, s8
	s_or_b32 s7, s0, s7
	s_delay_alu instid0(SALU_CYCLE_1)
	s_and_not1_b32 exec_lo, exec_lo, s7
	s_cbranch_execz .LBB24_23
.LBB24_14:                              ;   Parent Loop BB24_11 Depth=1
                                        ; =>  This Inner Loop Header: Depth=2
	v_ashrrev_i32_e32 v17, 31, v16
	s_mov_b32 s8, exec_lo
	s_delay_alu instid0(VALU_DEP_1) | instskip(NEXT) | instid1(VALU_DEP_1)
	v_lshlrev_b64 v[4:5], 2, v[16:17]
	v_add_co_u32 v4, vcc_lo, s14, v4
	s_delay_alu instid0(VALU_DEP_2) | instskip(SKIP_3) | instid1(VALU_DEP_1)
	v_add_co_ci_u32_e32 v5, vcc_lo, s15, v5, vcc_lo
	global_load_b32 v4, v[4:5], off
	s_waitcnt vmcnt(0)
	v_subrev_nc_u32_e32 v4, s4, v4
	v_sub_nc_u32_e32 v6, v4, v30
	s_delay_alu instid0(VALU_DEP_1)
	v_cmp_gt_u32_e64 s0, 32, v6
	v_cmpx_lt_u32_e32 31, v6
	s_xor_b32 s8, exec_lo, s8
; %bb.15:                               ;   in Loop: Header=BB24_14 Depth=2
	v_min_i32_e32 v43, v4, v43
                                        ; implicit-def: $vgpr6
; %bb.16:                               ;   in Loop: Header=BB24_14 Depth=2
	s_and_not1_saveexec_b32 s8, s8
	s_cbranch_execz .LBB24_21
; %bb.17:                               ;   in Loop: Header=BB24_14 Depth=2
	v_lshlrev_b64 v[4:5], 4, v[20:21]
	v_lshlrev_b32_e32 v7, 6, v6
	v_add_nc_u32_e32 v17, v25, v6
	s_delay_alu instid0(VALU_DEP_2) | instskip(NEXT) | instid1(VALU_DEP_4)
	v_add_nc_u32_e32 v6, v24, v7
	v_add_co_u32 v4, vcc_lo, s2, v4
	v_add_co_ci_u32_e32 v5, vcc_lo, s3, v5, vcc_lo
	s_and_not1_b32 vcc_lo, exec_lo, s1
	global_load_b128 v[44:47], v[4:5], off
	s_waitcnt vmcnt(0)
	v_mul_f64 v[22:23], v[46:47], -v[10:11]
	v_mul_f64 v[48:49], v[8:9], v[46:47]
	s_delay_alu instid0(VALU_DEP_2) | instskip(NEXT) | instid1(VALU_DEP_2)
	v_fma_f64 v[46:47], v[8:9], v[44:45], v[22:23]
	v_fma_f64 v[48:49], v[10:11], v[44:45], v[48:49]
	ds_store_b8 v17, v42
	ds_store_b128 v6, v[46:49]
	s_cbranch_vccnz .LBB24_19
; %bb.18:                               ;   in Loop: Header=BB24_14 Depth=2
	s_clause 0x2
	global_load_b128 v[44:47], v[4:5], off offset:32
	global_load_b128 v[48:51], v[4:5], off offset:16
	;; [unrolled: 1-line block ×3, first 2 shown]
	s_waitcnt vmcnt(2)
	v_mul_f64 v[22:23], v[46:47], -v[10:11]
	v_mul_f64 v[46:47], v[8:9], v[46:47]
	s_waitcnt vmcnt(1)
	v_mul_f64 v[58:59], v[50:51], -v[10:11]
	v_mul_f64 v[50:51], v[8:9], v[50:51]
	;; [unrolled: 3-line block ×3, first 2 shown]
	v_fma_f64 v[54:55], v[8:9], v[44:45], v[22:23]
	v_fma_f64 v[56:57], v[10:11], v[44:45], v[46:47]
	;; [unrolled: 1-line block ×6, first 2 shown]
	ds_store_b128 v6, v[54:57] offset:16
	ds_store_b128 v6, v[44:47] offset:32
	;; [unrolled: 1-line block ×3, first 2 shown]
	s_cbranch_execz .LBB24_20
	s_branch .LBB24_21
.LBB24_19:                              ;   in Loop: Header=BB24_14 Depth=2
.LBB24_20:                              ;   in Loop: Header=BB24_14 Depth=2
	s_clause 0x2
	global_load_b128 v[44:47], v[4:5], off offset:16
	global_load_b128 v[48:51], v[4:5], off offset:32
	;; [unrolled: 1-line block ×3, first 2 shown]
	s_waitcnt vmcnt(2)
	v_mul_f64 v[4:5], v[46:47], -v[10:11]
	v_mul_f64 v[22:23], v[8:9], v[46:47]
	s_waitcnt vmcnt(1)
	v_mul_f64 v[46:47], v[50:51], -v[10:11]
	v_mul_f64 v[50:51], v[8:9], v[50:51]
	;; [unrolled: 3-line block ×3, first 2 shown]
	v_fma_f64 v[54:55], v[8:9], v[44:45], v[4:5]
	v_fma_f64 v[56:57], v[10:11], v[44:45], v[22:23]
	;; [unrolled: 1-line block ×6, first 2 shown]
	ds_store_b128 v6, v[54:57] offset:16
	ds_store_b128 v6, v[44:47] offset:32
	;; [unrolled: 1-line block ×3, first 2 shown]
.LBB24_21:                              ;   in Loop: Header=BB24_14 Depth=2
	s_or_b32 exec_lo, exec_lo, s8
	s_mov_b32 s8, -1
	s_and_saveexec_b32 s9, s0
	s_cbranch_execz .LBB24_13
; %bb.22:                               ;   in Loop: Header=BB24_14 Depth=2
	v_add_nc_u32_e32 v16, 32, v16
	v_add_nc_u32_e32 v20, 0x80, v20
	s_delay_alu instid0(VALU_DEP_2)
	v_cmp_ge_i32_e32 vcc_lo, v16, v26
	s_or_not1_b32 s8, vcc_lo, exec_lo
	s_branch .LBB24_13
.LBB24_23:                              ;   in Loop: Header=BB24_11 Depth=1
	s_or_b32 exec_lo, exec_lo, s7
.LBB24_24:                              ;   in Loop: Header=BB24_11 Depth=1
	s_delay_alu instid0(SALU_CYCLE_1) | instskip(NEXT) | instid1(SALU_CYCLE_1)
	s_or_b32 exec_lo, exec_lo, s6
	s_mov_b32 s6, exec_lo
	s_waitcnt lgkmcnt(0)
	buffer_gl0_inv
	v_cmpx_lt_i32_e64 v18, v27
	s_cbranch_execz .LBB24_37
; %bb.25:                               ;   in Loop: Header=BB24_11 Depth=1
	v_lshlrev_b32_e32 v20, 2, v18
	s_mov_b32 s7, 0
	s_branch .LBB24_27
.LBB24_26:                              ;   in Loop: Header=BB24_27 Depth=2
	s_or_b32 exec_lo, exec_lo, s9
	s_delay_alu instid0(SALU_CYCLE_1) | instskip(NEXT) | instid1(SALU_CYCLE_1)
	s_and_b32 s0, exec_lo, s8
	s_or_b32 s7, s0, s7
	s_delay_alu instid0(SALU_CYCLE_1)
	s_and_not1_b32 exec_lo, exec_lo, s7
	s_cbranch_execz .LBB24_36
.LBB24_27:                              ;   Parent Loop BB24_11 Depth=1
                                        ; =>  This Inner Loop Header: Depth=2
	v_ashrrev_i32_e32 v19, 31, v18
	s_mov_b32 s8, exec_lo
	s_waitcnt lgkmcnt(2)
	s_delay_alu instid0(VALU_DEP_1) | instskip(NEXT) | instid1(VALU_DEP_1)
	v_lshlrev_b64 v[4:5], 2, v[18:19]
	v_add_co_u32 v4, vcc_lo, s18, v4
	s_delay_alu instid0(VALU_DEP_2) | instskip(SKIP_3) | instid1(VALU_DEP_1)
	v_add_co_ci_u32_e32 v5, vcc_lo, s19, v5, vcc_lo
	global_load_b32 v4, v[4:5], off
	s_waitcnt vmcnt(0)
	v_subrev_nc_u32_e32 v4, s5, v4
	v_sub_nc_u32_e32 v19, v4, v30
	s_delay_alu instid0(VALU_DEP_1)
	v_cmp_gt_u32_e64 s0, 32, v19
	v_cmpx_lt_u32_e32 31, v19
	s_xor_b32 s8, exec_lo, s8
; %bb.28:                               ;   in Loop: Header=BB24_27 Depth=2
	v_min_i32_e32 v43, v4, v43
                                        ; implicit-def: $vgpr19
; %bb.29:                               ;   in Loop: Header=BB24_27 Depth=2
	s_and_not1_saveexec_b32 s8, s8
	s_cbranch_execz .LBB24_34
; %bb.30:                               ;   in Loop: Header=BB24_27 Depth=2
	v_lshlrev_b64 v[4:5], 4, v[20:21]
	s_delay_alu instid0(VALU_DEP_1) | instskip(NEXT) | instid1(VALU_DEP_2)
	v_add_co_u32 v22, vcc_lo, s12, v4
	v_add_co_ci_u32_e32 v23, vcc_lo, s13, v5, vcc_lo
	v_lshlrev_b32_e32 v4, 6, v19
	v_add_nc_u32_e32 v19, v25, v19
	s_and_not1_b32 vcc_lo, exec_lo, s1
	global_load_b128 v[44:47], v[22:23], off
	v_add_nc_u32_e32 v17, v24, v4
	ds_load_b128 v[48:51], v17
	ds_load_b128 v[4:7], v17 offset:16
	s_waitcnt vmcnt(0) lgkmcnt(1)
	v_fma_f64 v[48:49], v[12:13], v[44:45], v[48:49]
	v_fma_f64 v[50:51], v[14:15], v[44:45], v[50:51]
	s_delay_alu instid0(VALU_DEP_2) | instskip(NEXT) | instid1(VALU_DEP_2)
	v_fma_f64 v[44:45], -v[14:15], v[46:47], v[48:49]
	v_fma_f64 v[46:47], v[12:13], v[46:47], v[50:51]
	ds_store_b8 v19, v42
	ds_store_b128 v17, v[44:47]
	s_cbranch_vccnz .LBB24_32
; %bb.31:                               ;   in Loop: Header=BB24_27 Depth=2
	s_clause 0x2
	global_load_b128 v[44:47], v[22:23], off offset:32
	global_load_b128 v[48:51], v[22:23], off offset:16
	;; [unrolled: 1-line block ×3, first 2 shown]
	ds_load_b128 v[56:59], v17 offset:32
	ds_load_b128 v[60:63], v17 offset:48
	s_waitcnt vmcnt(2) lgkmcnt(4)
	v_fma_f64 v[64:65], v[12:13], v[44:45], v[4:5]
	v_fma_f64 v[66:67], v[14:15], v[44:45], v[6:7]
	s_waitcnt vmcnt(1) lgkmcnt(1)
	v_fma_f64 v[56:57], v[12:13], v[48:49], v[56:57]
	v_fma_f64 v[58:59], v[14:15], v[48:49], v[58:59]
	;; [unrolled: 3-line block ×3, first 2 shown]
	v_fma_f64 v[44:45], -v[14:15], v[46:47], v[64:65]
	v_fma_f64 v[46:47], v[12:13], v[46:47], v[66:67]
	v_fma_f64 v[48:49], -v[14:15], v[50:51], v[56:57]
	v_fma_f64 v[50:51], v[12:13], v[50:51], v[58:59]
	;; [unrolled: 2-line block ×3, first 2 shown]
	ds_store_b128 v17, v[44:47] offset:16
	ds_store_b128 v17, v[48:51] offset:32
	;; [unrolled: 1-line block ×3, first 2 shown]
	s_cbranch_execz .LBB24_33
	s_branch .LBB24_34
.LBB24_32:                              ;   in Loop: Header=BB24_27 Depth=2
.LBB24_33:                              ;   in Loop: Header=BB24_27 Depth=2
	s_clause 0x2
	global_load_b128 v[44:47], v[22:23], off offset:16
	global_load_b128 v[48:51], v[22:23], off offset:32
	;; [unrolled: 1-line block ×3, first 2 shown]
	ds_load_b128 v[56:59], v17 offset:32
	ds_load_b128 v[60:63], v17 offset:48
	s_waitcnt vmcnt(2) lgkmcnt(4)
	v_fma_f64 v[4:5], v[12:13], v[44:45], v[4:5]
	v_fma_f64 v[6:7], v[14:15], v[44:45], v[6:7]
	s_waitcnt vmcnt(1) lgkmcnt(1)
	v_fma_f64 v[22:23], v[12:13], v[48:49], v[56:57]
	v_fma_f64 v[48:49], v[14:15], v[48:49], v[58:59]
	;; [unrolled: 3-line block ×3, first 2 shown]
	v_fma_f64 v[4:5], -v[14:15], v[46:47], v[4:5]
	v_fma_f64 v[6:7], v[12:13], v[46:47], v[6:7]
	v_fma_f64 v[44:45], -v[14:15], v[50:51], v[22:23]
	v_fma_f64 v[46:47], v[12:13], v[50:51], v[48:49]
	;; [unrolled: 2-line block ×3, first 2 shown]
	ds_store_b128 v17, v[4:7] offset:16
	ds_store_b128 v17, v[44:47] offset:32
	;; [unrolled: 1-line block ×3, first 2 shown]
.LBB24_34:                              ;   in Loop: Header=BB24_27 Depth=2
	s_or_b32 exec_lo, exec_lo, s8
	s_mov_b32 s8, -1
	s_and_saveexec_b32 s9, s0
	s_cbranch_execz .LBB24_26
; %bb.35:                               ;   in Loop: Header=BB24_27 Depth=2
	v_add_nc_u32_e32 v18, 32, v18
	v_add_nc_u32_e32 v20, 0x80, v20
	s_delay_alu instid0(VALU_DEP_2)
	v_cmp_ge_i32_e32 vcc_lo, v18, v27
	s_or_not1_b32 s8, vcc_lo, exec_lo
	s_branch .LBB24_26
.LBB24_36:                              ;   in Loop: Header=BB24_11 Depth=1
	s_or_b32 exec_lo, exec_lo, s7
.LBB24_37:                              ;   in Loop: Header=BB24_11 Depth=1
	s_delay_alu instid0(SALU_CYCLE_1)
	s_or_b32 exec_lo, exec_lo, s6
	s_waitcnt lgkmcnt(0)
	buffer_gl0_inv
	ds_load_u8 v4, v41
	s_mov_b32 s6, exec_lo
	s_waitcnt lgkmcnt(0)
	v_and_b32_e32 v5, 1, v4
	v_cmp_ne_u16_e32 vcc_lo, 0, v4
	s_delay_alu instid0(VALU_DEP_2)
	v_cmpx_eq_u32_e32 1, v5
	s_cbranch_execz .LBB24_10
; %bb.38:                               ;   in Loop: Header=BB24_11 Depth=1
	v_and_b32_e32 v4, vcc_lo, v31
	v_add_nc_u32_e32 v17, v32, v30
	s_delay_alu instid0(VALU_DEP_2) | instskip(NEXT) | instid1(VALU_DEP_1)
	v_bcnt_u32_b32 v4, v4, 0
	v_add3_u32 v22, v28, v4, -1
	ds_load_2addr_b64 v[4:7], v29 offset1:1
	ds_load_2addr_b64 v[44:47], v39 offset1:1
	;; [unrolled: 1-line block ×4, first 2 shown]
	v_ashrrev_i32_e32 v23, 31, v22
	v_lshlrev_b32_e32 v20, 2, v22
	s_delay_alu instid0(VALU_DEP_2) | instskip(NEXT) | instid1(VALU_DEP_2)
	v_lshlrev_b64 v[22:23], 2, v[22:23]
	v_lshlrev_b64 v[19:20], 4, v[20:21]
	s_delay_alu instid0(VALU_DEP_2) | instskip(NEXT) | instid1(VALU_DEP_1)
	v_add_co_u32 v22, s0, s20, v22
	v_add_co_ci_u32_e64 v23, s0, s21, v23, s0
	s_delay_alu instid0(VALU_DEP_3) | instskip(NEXT) | instid1(VALU_DEP_1)
	v_add_co_u32 v19, s0, s22, v19
	v_add_co_ci_u32_e64 v20, s0, s23, v20, s0
	global_store_b32 v[22:23], v17, off
	s_waitcnt lgkmcnt(3)
	global_store_b128 v[19:20], v[4:7], off
	s_waitcnt lgkmcnt(2)
	global_store_b128 v[19:20], v[44:47], off offset:16
	s_waitcnt lgkmcnt(1)
	global_store_b128 v[19:20], v[48:51], off offset:32
	;; [unrolled: 2-line block ×3, first 2 shown]
	s_branch .LBB24_10
.LBB24_39:
	s_endpgm
	.section	.rodata,"a",@progbits
	.p2align	6, 0x0
	.amdhsa_kernel _ZN9rocsparseL39bsrgeam_wf_per_row_multipass_2_3_kernelILj256ELj2ELj32E21rocsparse_complex_numIdEEEv20rocsparse_direction_iiiNS_24const_host_device_scalarIT2_EEPKiS8_PKS5_S6_S8_S8_SA_S8_PiPS5_21rocsparse_index_base_SD_SD_b
		.amdhsa_group_segment_fixed_size 18688
		.amdhsa_private_segment_fixed_size 16
		.amdhsa_kernarg_size 136
		.amdhsa_user_sgpr_count 15
		.amdhsa_user_sgpr_dispatch_ptr 1
		.amdhsa_user_sgpr_queue_ptr 0
		.amdhsa_user_sgpr_kernarg_segment_ptr 1
		.amdhsa_user_sgpr_dispatch_id 0
		.amdhsa_user_sgpr_private_segment_size 0
		.amdhsa_wavefront_size32 1
		.amdhsa_uses_dynamic_stack 0
		.amdhsa_enable_private_segment 1
		.amdhsa_system_sgpr_workgroup_id_x 1
		.amdhsa_system_sgpr_workgroup_id_y 0
		.amdhsa_system_sgpr_workgroup_id_z 0
		.amdhsa_system_sgpr_workgroup_info 0
		.amdhsa_system_vgpr_workitem_id 2
		.amdhsa_next_free_vgpr 68
		.amdhsa_next_free_sgpr 28
		.amdhsa_reserve_vcc 1
		.amdhsa_float_round_mode_32 0
		.amdhsa_float_round_mode_16_64 0
		.amdhsa_float_denorm_mode_32 3
		.amdhsa_float_denorm_mode_16_64 3
		.amdhsa_dx10_clamp 1
		.amdhsa_ieee_mode 1
		.amdhsa_fp16_overflow 0
		.amdhsa_workgroup_processor_mode 1
		.amdhsa_memory_ordered 1
		.amdhsa_forward_progress 0
		.amdhsa_shared_vgpr_count 0
		.amdhsa_exception_fp_ieee_invalid_op 0
		.amdhsa_exception_fp_denorm_src 0
		.amdhsa_exception_fp_ieee_div_zero 0
		.amdhsa_exception_fp_ieee_overflow 0
		.amdhsa_exception_fp_ieee_underflow 0
		.amdhsa_exception_fp_ieee_inexact 0
		.amdhsa_exception_int_div_zero 0
	.end_amdhsa_kernel
	.section	.text._ZN9rocsparseL39bsrgeam_wf_per_row_multipass_2_3_kernelILj256ELj2ELj32E21rocsparse_complex_numIdEEEv20rocsparse_direction_iiiNS_24const_host_device_scalarIT2_EEPKiS8_PKS5_S6_S8_S8_SA_S8_PiPS5_21rocsparse_index_base_SD_SD_b,"axG",@progbits,_ZN9rocsparseL39bsrgeam_wf_per_row_multipass_2_3_kernelILj256ELj2ELj32E21rocsparse_complex_numIdEEEv20rocsparse_direction_iiiNS_24const_host_device_scalarIT2_EEPKiS8_PKS5_S6_S8_S8_SA_S8_PiPS5_21rocsparse_index_base_SD_SD_b,comdat
.Lfunc_end24:
	.size	_ZN9rocsparseL39bsrgeam_wf_per_row_multipass_2_3_kernelILj256ELj2ELj32E21rocsparse_complex_numIdEEEv20rocsparse_direction_iiiNS_24const_host_device_scalarIT2_EEPKiS8_PKS5_S6_S8_S8_SA_S8_PiPS5_21rocsparse_index_base_SD_SD_b, .Lfunc_end24-_ZN9rocsparseL39bsrgeam_wf_per_row_multipass_2_3_kernelILj256ELj2ELj32E21rocsparse_complex_numIdEEEv20rocsparse_direction_iiiNS_24const_host_device_scalarIT2_EEPKiS8_PKS5_S6_S8_S8_SA_S8_PiPS5_21rocsparse_index_base_SD_SD_b
                                        ; -- End function
	.section	.AMDGPU.csdata,"",@progbits
; Kernel info:
; codeLenInByte = 2652
; NumSgprs: 30
; NumVgprs: 68
; ScratchSize: 16
; MemoryBound: 0
; FloatMode: 240
; IeeeMode: 1
; LDSByteSize: 18688 bytes/workgroup (compile time only)
; SGPRBlocks: 3
; VGPRBlocks: 8
; NumSGPRsForWavesPerEU: 30
; NumVGPRsForWavesPerEU: 68
; Occupancy: 14
; WaveLimiterHint : 1
; COMPUTE_PGM_RSRC2:SCRATCH_EN: 1
; COMPUTE_PGM_RSRC2:USER_SGPR: 15
; COMPUTE_PGM_RSRC2:TRAP_HANDLER: 0
; COMPUTE_PGM_RSRC2:TGID_X_EN: 1
; COMPUTE_PGM_RSRC2:TGID_Y_EN: 0
; COMPUTE_PGM_RSRC2:TGID_Z_EN: 0
; COMPUTE_PGM_RSRC2:TIDIG_COMP_CNT: 2
	.section	.text._ZN9rocsparseL39bsrgeam_wf_per_row_multipass_2_3_kernelILj256ELj2ELj64E21rocsparse_complex_numIdEEEv20rocsparse_direction_iiiNS_24const_host_device_scalarIT2_EEPKiS8_PKS5_S6_S8_S8_SA_S8_PiPS5_21rocsparse_index_base_SD_SD_b,"axG",@progbits,_ZN9rocsparseL39bsrgeam_wf_per_row_multipass_2_3_kernelILj256ELj2ELj64E21rocsparse_complex_numIdEEEv20rocsparse_direction_iiiNS_24const_host_device_scalarIT2_EEPKiS8_PKS5_S6_S8_S8_SA_S8_PiPS5_21rocsparse_index_base_SD_SD_b,comdat
	.globl	_ZN9rocsparseL39bsrgeam_wf_per_row_multipass_2_3_kernelILj256ELj2ELj64E21rocsparse_complex_numIdEEEv20rocsparse_direction_iiiNS_24const_host_device_scalarIT2_EEPKiS8_PKS5_S6_S8_S8_SA_S8_PiPS5_21rocsparse_index_base_SD_SD_b ; -- Begin function _ZN9rocsparseL39bsrgeam_wf_per_row_multipass_2_3_kernelILj256ELj2ELj64E21rocsparse_complex_numIdEEEv20rocsparse_direction_iiiNS_24const_host_device_scalarIT2_EEPKiS8_PKS5_S6_S8_S8_SA_S8_PiPS5_21rocsparse_index_base_SD_SD_b
	.p2align	8
	.type	_ZN9rocsparseL39bsrgeam_wf_per_row_multipass_2_3_kernelILj256ELj2ELj64E21rocsparse_complex_numIdEEEv20rocsparse_direction_iiiNS_24const_host_device_scalarIT2_EEPKiS8_PKS5_S6_S8_S8_SA_S8_PiPS5_21rocsparse_index_base_SD_SD_b,@function
_ZN9rocsparseL39bsrgeam_wf_per_row_multipass_2_3_kernelILj256ELj2ELj64E21rocsparse_complex_numIdEEEv20rocsparse_direction_iiiNS_24const_host_device_scalarIT2_EEPKiS8_PKS5_S6_S8_S8_SA_S8_PiPS5_21rocsparse_index_base_SD_SD_b: ; @_ZN9rocsparseL39bsrgeam_wf_per_row_multipass_2_3_kernelILj256ELj2ELj64E21rocsparse_complex_numIdEEEv20rocsparse_direction_iiiNS_24const_host_device_scalarIT2_EEPKiS8_PKS5_S6_S8_S8_SA_S8_PiPS5_21rocsparse_index_base_SD_SD_b
; %bb.0:
	s_clause 0x1
	s_load_b128 s[4:7], s[2:3], 0x78
	s_load_b128 s[16:19], s[2:3], 0x10
	s_load_b64 s[12:13], s[0:1], 0x4
	s_mov_b64 s[0:1], src_shared_base
	v_and_b32_e32 v6, 0x3ff, v0
	s_load_b128 s[8:11], s[2:3], 0x38
	v_bfe_u32 v2, v0, 10, 10
	v_bfe_u32 v0, v0, 20, 10
	s_waitcnt lgkmcnt(0)
	s_bitcmp1_b32 s7, 0
	v_mov_b32_e32 v10, s18
	s_cselect_b32 s0, -1, 0
	v_mov_b32_e32 v11, s19
	s_and_b32 vcc_lo, s0, exec_lo
	s_cselect_b32 s1, s1, s17
	s_lshr_b32 s7, s12, 16
	v_mov_b32_e32 v5, s1
	s_mul_i32 s7, s7, s13
	s_xor_b32 s1, s0, -1
	v_mul_lo_u32 v1, s7, v6
	s_delay_alu instid0(VALU_DEP_1) | instskip(SKIP_1) | instid1(VALU_DEP_2)
	v_mad_u32_u24 v1, v2, s13, v1
	v_dual_mov_b32 v2, s8 :: v_dual_mov_b32 v3, s9
	v_add_lshl_u32 v7, v1, v0, 3
	v_dual_mov_b32 v0, s16 :: v_dual_mov_b32 v1, s17
	scratch_store_b64 off, v[2:3], off
	v_add_nc_u32_e32 v4, 0x4100, v7
	ds_store_b64 v7, v[0:1] offset:16640
	v_cndmask_b32_e64 v4, s16, v4, s0
	flat_load_b64 v[8:9], v[4:5]
	s_cbranch_vccnz .LBB25_2
; %bb.1:
	v_dual_mov_b32 v0, s16 :: v_dual_mov_b32 v1, s17
	flat_load_b64 v[10:11], v[0:1] offset:8
.LBB25_2:
	s_mov_b64 s[12:13], src_private_base
	s_and_b32 s7, s0, exec_lo
	s_cselect_b32 s7, s13, s9
	s_delay_alu instid0(SALU_CYCLE_1) | instskip(SKIP_2) | instid1(VALU_DEP_2)
	v_dual_mov_b32 v0, 0 :: v_dual_mov_b32 v1, s7
	v_dual_mov_b32 v15, s11 :: v_dual_mov_b32 v14, s10
	s_and_not1_b32 vcc_lo, exec_lo, s1
	v_cndmask_b32_e64 v0, s8, v0, s0
	flat_load_b64 v[12:13], v[0:1]
	s_cbranch_vccnz .LBB25_4
; %bb.3:
	v_dual_mov_b32 v0, s8 :: v_dual_mov_b32 v1, s9
	flat_load_b64 v[14:15], v[0:1] offset:8
.LBB25_4:
	s_load_b128 s[8:11], s[2:3], 0x0
	v_lshrrev_b32_e32 v7, 6, v6
	s_lshl_b32 s0, s15, 2
	s_delay_alu instid0(VALU_DEP_1) | instid1(SALU_CYCLE_1)
	v_and_or_b32 v0, 0x3fffffc, s0, v7
	s_mov_b32 s0, exec_lo
	s_waitcnt lgkmcnt(0)
	s_delay_alu instid0(VALU_DEP_1)
	v_cmpx_gt_i32_e64 s9, v0
	s_cbranch_execz .LBB25_39
; %bb.5:
	s_clause 0x2
	s_load_b128 s[12:15], s[2:3], 0x20
	s_load_b128 s[16:19], s[2:3], 0x48
	s_load_b64 s[0:1], s[2:3], 0x60
	v_lshlrev_b32_e32 v2, 2, v0
	s_waitcnt lgkmcnt(0)
	s_clause 0x2
	global_load_b64 v[0:1], v2, s[12:13]
	global_load_b64 v[4:5], v2, s[16:17]
	global_load_b32 v16, v2, s[0:1]
	s_waitcnt vmcnt(2)
	v_subrev_nc_u32_e32 v2, s4, v0
	v_cmp_lt_i32_e32 vcc_lo, v0, v1
	v_mov_b32_e32 v0, s10
	s_and_saveexec_b32 s0, vcc_lo
	s_cbranch_execz .LBB25_7
; %bb.6:
	v_ashrrev_i32_e32 v3, 31, v2
	s_delay_alu instid0(VALU_DEP_1) | instskip(NEXT) | instid1(VALU_DEP_1)
	v_lshlrev_b64 v[17:18], 2, v[2:3]
	v_add_co_u32 v17, vcc_lo, s14, v17
	s_delay_alu instid0(VALU_DEP_2)
	v_add_co_ci_u32_e32 v18, vcc_lo, s15, v18, vcc_lo
	global_load_b32 v0, v[17:18], off
	s_waitcnt vmcnt(0)
	v_subrev_nc_u32_e32 v0, s4, v0
.LBB25_7:
	s_or_b32 exec_lo, exec_lo, s0
	s_clause 0x2
	s_load_b128 s[20:23], s[2:3], 0x68
	s_load_b64 s[12:13], s[2:3], 0x58
	s_load_b64 s[2:3], s[2:3], 0x30
	s_waitcnt vmcnt(1)
	v_subrev_nc_u32_e32 v3, s5, v4
	v_cmp_lt_i32_e32 vcc_lo, v4, v5
	v_mov_b32_e32 v4, s10
	s_and_saveexec_b32 s0, vcc_lo
	s_cbranch_execz .LBB25_9
; %bb.8:
	v_ashrrev_i32_e32 v4, 31, v3
	s_delay_alu instid0(VALU_DEP_1) | instskip(NEXT) | instid1(VALU_DEP_1)
	v_lshlrev_b64 v[17:18], 2, v[3:4]
	v_add_co_u32 v17, vcc_lo, s18, v17
	s_delay_alu instid0(VALU_DEP_2)
	v_add_co_ci_u32_e32 v18, vcc_lo, s19, v18, vcc_lo
	global_load_b32 v4, v[17:18], off
	s_waitcnt vmcnt(0)
	v_subrev_nc_u32_e32 v4, s5, v4
.LBB25_9:
	s_or_b32 exec_lo, exec_lo, s0
	s_movk_i32 s0, 0xc0
	s_cmp_eq_u32 s8, 0
	v_dual_mov_b32 v22, 0 :: v_dual_lshlrev_b32 v25, 12, v7
	v_and_or_b32 v26, v6, s0, 0x4000
	s_cselect_b32 vcc_lo, -1, 0
	v_and_b32_e32 v6, 63, v6
	v_min_i32_e32 v31, v4, v0
	v_mbcnt_lo_u32_b32 v0, -1, 0
	s_mov_b32 s24, 0
	v_subrev_nc_u32_e32 v27, s4, v1
	v_lshl_or_b32 v30, v6, 6, v25
	s_mov_b32 s25, s24
	v_or_b32_e32 v1, 32, v0
	s_mov_b32 s26, s24
	s_mov_b32 s27, s24
	v_add_nc_u32_e32 v18, v3, v6
	v_or_b32_e32 v3, 16, v30
	v_or_b32_e32 v4, 32, v30
	s_waitcnt vmcnt(0)
	v_subrev_nc_u32_e32 v29, s6, v16
	v_cmp_gt_i32_e64 s0, 32, v1
	v_subrev_nc_u32_e32 v28, s5, v5
	v_xor_b32_e32 v5, 4, v0
	v_dual_cndmask_b32 v41, v3, v4 :: v_dual_add_nc_u32 v16, v2, v6
	v_xor_b32_e32 v2, 63, v6
	v_cndmask_b32_e64 v1, v0, v1, s0
	v_xor_b32_e32 v7, 2, v0
	v_xor_b32_e32 v17, 1, v0
	v_cndmask_b32_e32 v40, v4, v3, vcc_lo
	v_lshrrev_b64 v[20:21], v2, -1
	v_xor_b32_e32 v2, 16, v0
	v_lshlrev_b32_e32 v33, 2, v1
	v_xor_b32_e32 v1, 8, v0
	v_dual_mov_b32 v43, 1 :: v_dual_add_nc_u32 v32, s6, v6
	s_delay_alu instid0(VALU_DEP_4) | instskip(SKIP_3) | instid1(VALU_DEP_3)
	v_cmp_gt_i32_e64 s0, 32, v2
	v_or_b32_e32 v34, 48, v30
	v_add_nc_u32_e32 v42, v26, v6
	s_cmp_lg_u32 s8, 0
	v_cndmask_b32_e64 v2, v0, v2, s0
	v_cmp_gt_i32_e64 s0, 32, v1
	s_cselect_b32 s1, -1, 0
	s_delay_alu instid0(VALU_DEP_2) | instskip(NEXT) | instid1(VALU_DEP_2)
	v_lshlrev_b32_e32 v35, 2, v2
	v_cndmask_b32_e64 v1, v0, v1, s0
	v_cmp_gt_i32_e64 s0, 32, v5
	s_delay_alu instid0(VALU_DEP_2) | instskip(NEXT) | instid1(VALU_DEP_2)
	v_lshlrev_b32_e32 v36, 2, v1
	v_cndmask_b32_e64 v5, v0, v5, s0
	v_cmp_gt_i32_e64 s0, 32, v7
	;; [unrolled: 4-line block ×3, first 2 shown]
	s_delay_alu instid0(VALU_DEP_2) | instskip(NEXT) | instid1(VALU_DEP_2)
	v_lshlrev_b32_e32 v38, 2, v7
	v_cndmask_b32_e64 v0, v0, v17, s0
	s_delay_alu instid0(VALU_DEP_1)
	v_dual_mov_b32 v0, s24 :: v_dual_lshlrev_b32 v39, 2, v0
	v_dual_mov_b32 v2, s26 :: v_dual_mov_b32 v1, s25
	v_mov_b32_e32 v3, s27
	s_branch .LBB25_11
.LBB25_10:                              ;   in Loop: Header=BB25_11 Depth=1
	s_or_b32 exec_lo, exec_lo, s6
	ds_bpermute_b32 v4, v33, v44
	s_bcnt1_i32_b32 s6, vcc_lo
	s_delay_alu instid0(SALU_CYCLE_1)
	v_add_nc_u32_e32 v29, s6, v29
	s_waitcnt lgkmcnt(0)
	v_min_i32_e32 v4, v4, v44
	ds_bpermute_b32 v5, v35, v4
	s_waitcnt lgkmcnt(0)
	v_min_i32_e32 v4, v5, v4
	ds_bpermute_b32 v5, v36, v4
	;; [unrolled: 3-line block ×5, first 2 shown]
	s_waitcnt lgkmcnt(0)
	v_min_i32_e32 v31, v5, v4
	s_delay_alu instid0(VALU_DEP_1) | instskip(NEXT) | instid1(VALU_DEP_1)
	v_cmp_le_i32_e64 s0, s10, v31
	s_or_b32 s24, s0, s24
	s_delay_alu instid0(SALU_CYCLE_1)
	s_and_not1_b32 exec_lo, exec_lo, s24
	s_cbranch_execz .LBB25_39
.LBB25_11:                              ; =>This Loop Header: Depth=1
                                        ;     Child Loop BB25_14 Depth 2
                                        ;     Child Loop BB25_27 Depth 2
	v_mov_b32_e32 v44, s10
	s_mov_b32 s6, exec_lo
	ds_store_b8 v42, v22
	ds_store_b128 v30, v[0:3]
	ds_store_b128 v30, v[0:3] offset:16
	ds_store_b128 v30, v[0:3] offset:32
	;; [unrolled: 1-line block ×3, first 2 shown]
	s_waitcnt lgkmcnt(0)
	s_waitcnt_vscnt null, 0x0
	buffer_gl0_inv
	v_cmpx_lt_i32_e64 v16, v27
	s_cbranch_execz .LBB25_24
; %bb.12:                               ;   in Loop: Header=BB25_11 Depth=1
	v_dual_mov_b32 v44, s10 :: v_dual_lshlrev_b32 v21, 2, v16
	s_mov_b32 s7, 0
	s_branch .LBB25_14
.LBB25_13:                              ;   in Loop: Header=BB25_14 Depth=2
	s_or_b32 exec_lo, exec_lo, s9
	s_delay_alu instid0(SALU_CYCLE_1) | instskip(NEXT) | instid1(SALU_CYCLE_1)
	s_and_b32 s0, exec_lo, s8
	s_or_b32 s7, s0, s7
	s_delay_alu instid0(SALU_CYCLE_1)
	s_and_not1_b32 exec_lo, exec_lo, s7
	s_cbranch_execz .LBB25_23
.LBB25_14:                              ;   Parent Loop BB25_11 Depth=1
                                        ; =>  This Inner Loop Header: Depth=2
	v_ashrrev_i32_e32 v17, 31, v16
	s_mov_b32 s8, exec_lo
	s_delay_alu instid0(VALU_DEP_1) | instskip(NEXT) | instid1(VALU_DEP_1)
	v_lshlrev_b64 v[4:5], 2, v[16:17]
	v_add_co_u32 v4, vcc_lo, s14, v4
	s_delay_alu instid0(VALU_DEP_2) | instskip(SKIP_3) | instid1(VALU_DEP_1)
	v_add_co_ci_u32_e32 v5, vcc_lo, s15, v5, vcc_lo
	global_load_b32 v4, v[4:5], off
	s_waitcnt vmcnt(0)
	v_subrev_nc_u32_e32 v4, s4, v4
	v_sub_nc_u32_e32 v6, v4, v31
	s_delay_alu instid0(VALU_DEP_1)
	v_cmp_gt_u32_e64 s0, 64, v6
	v_cmpx_lt_u32_e32 63, v6
	s_xor_b32 s8, exec_lo, s8
; %bb.15:                               ;   in Loop: Header=BB25_14 Depth=2
	v_min_i32_e32 v44, v4, v44
                                        ; implicit-def: $vgpr6
; %bb.16:                               ;   in Loop: Header=BB25_14 Depth=2
	s_and_not1_saveexec_b32 s8, s8
	s_cbranch_execz .LBB25_21
; %bb.17:                               ;   in Loop: Header=BB25_14 Depth=2
	v_lshlrev_b64 v[4:5], 4, v[21:22]
	v_lshlrev_b32_e32 v7, 6, v6
	v_add_nc_u32_e32 v17, v26, v6
	s_delay_alu instid0(VALU_DEP_2) | instskip(NEXT) | instid1(VALU_DEP_4)
	v_add_nc_u32_e32 v6, v25, v7
	v_add_co_u32 v4, vcc_lo, s2, v4
	v_add_co_ci_u32_e32 v5, vcc_lo, s3, v5, vcc_lo
	s_and_not1_b32 vcc_lo, exec_lo, s1
	global_load_b128 v[45:48], v[4:5], off
	s_waitcnt vmcnt(0)
	v_mul_f64 v[23:24], v[47:48], -v[10:11]
	v_mul_f64 v[49:50], v[8:9], v[47:48]
	s_delay_alu instid0(VALU_DEP_2) | instskip(NEXT) | instid1(VALU_DEP_2)
	v_fma_f64 v[47:48], v[8:9], v[45:46], v[23:24]
	v_fma_f64 v[49:50], v[10:11], v[45:46], v[49:50]
	ds_store_b8 v17, v43
	ds_store_b128 v6, v[47:50]
	s_cbranch_vccnz .LBB25_19
; %bb.18:                               ;   in Loop: Header=BB25_14 Depth=2
	s_clause 0x2
	global_load_b128 v[45:48], v[4:5], off offset:32
	global_load_b128 v[49:52], v[4:5], off offset:16
	;; [unrolled: 1-line block ×3, first 2 shown]
	s_waitcnt vmcnt(2)
	v_mul_f64 v[23:24], v[47:48], -v[10:11]
	v_mul_f64 v[47:48], v[8:9], v[47:48]
	s_waitcnt vmcnt(1)
	v_mul_f64 v[59:60], v[51:52], -v[10:11]
	v_mul_f64 v[51:52], v[8:9], v[51:52]
	;; [unrolled: 3-line block ×3, first 2 shown]
	v_fma_f64 v[55:56], v[8:9], v[45:46], v[23:24]
	v_fma_f64 v[57:58], v[10:11], v[45:46], v[47:48]
	;; [unrolled: 1-line block ×6, first 2 shown]
	ds_store_b128 v6, v[55:58] offset:16
	ds_store_b128 v6, v[45:48] offset:32
	;; [unrolled: 1-line block ×3, first 2 shown]
	s_cbranch_execz .LBB25_20
	s_branch .LBB25_21
.LBB25_19:                              ;   in Loop: Header=BB25_14 Depth=2
.LBB25_20:                              ;   in Loop: Header=BB25_14 Depth=2
	s_clause 0x2
	global_load_b128 v[45:48], v[4:5], off offset:16
	global_load_b128 v[49:52], v[4:5], off offset:32
	global_load_b128 v[53:56], v[4:5], off offset:48
	s_waitcnt vmcnt(2)
	v_mul_f64 v[4:5], v[47:48], -v[10:11]
	v_mul_f64 v[23:24], v[8:9], v[47:48]
	s_waitcnt vmcnt(1)
	v_mul_f64 v[47:48], v[51:52], -v[10:11]
	v_mul_f64 v[51:52], v[8:9], v[51:52]
	;; [unrolled: 3-line block ×3, first 2 shown]
	v_fma_f64 v[55:56], v[8:9], v[45:46], v[4:5]
	v_fma_f64 v[57:58], v[10:11], v[45:46], v[23:24]
	;; [unrolled: 1-line block ×6, first 2 shown]
	ds_store_b128 v6, v[55:58] offset:16
	ds_store_b128 v6, v[45:48] offset:32
	ds_store_b128 v6, v[49:52] offset:48
.LBB25_21:                              ;   in Loop: Header=BB25_14 Depth=2
	s_or_b32 exec_lo, exec_lo, s8
	s_mov_b32 s8, -1
	s_and_saveexec_b32 s9, s0
	s_cbranch_execz .LBB25_13
; %bb.22:                               ;   in Loop: Header=BB25_14 Depth=2
	v_add_nc_u32_e32 v16, 64, v16
	v_add_nc_u32_e32 v21, 0x100, v21
	s_delay_alu instid0(VALU_DEP_2)
	v_cmp_ge_i32_e32 vcc_lo, v16, v27
	s_or_not1_b32 s8, vcc_lo, exec_lo
	s_branch .LBB25_13
.LBB25_23:                              ;   in Loop: Header=BB25_11 Depth=1
	s_or_b32 exec_lo, exec_lo, s7
.LBB25_24:                              ;   in Loop: Header=BB25_11 Depth=1
	s_delay_alu instid0(SALU_CYCLE_1) | instskip(NEXT) | instid1(SALU_CYCLE_1)
	s_or_b32 exec_lo, exec_lo, s6
	s_mov_b32 s6, exec_lo
	s_waitcnt lgkmcnt(0)
	buffer_gl0_inv
	v_cmpx_lt_i32_e64 v18, v28
	s_cbranch_execz .LBB25_37
; %bb.25:                               ;   in Loop: Header=BB25_11 Depth=1
	v_lshlrev_b32_e32 v21, 2, v18
	s_mov_b32 s7, 0
	s_branch .LBB25_27
.LBB25_26:                              ;   in Loop: Header=BB25_27 Depth=2
	s_or_b32 exec_lo, exec_lo, s9
	s_delay_alu instid0(SALU_CYCLE_1) | instskip(NEXT) | instid1(SALU_CYCLE_1)
	s_and_b32 s0, exec_lo, s8
	s_or_b32 s7, s0, s7
	s_delay_alu instid0(SALU_CYCLE_1)
	s_and_not1_b32 exec_lo, exec_lo, s7
	s_cbranch_execz .LBB25_36
.LBB25_27:                              ;   Parent Loop BB25_11 Depth=1
                                        ; =>  This Inner Loop Header: Depth=2
	v_ashrrev_i32_e32 v19, 31, v18
	s_mov_b32 s8, exec_lo
	s_waitcnt lgkmcnt(2)
	s_delay_alu instid0(VALU_DEP_1) | instskip(NEXT) | instid1(VALU_DEP_1)
	v_lshlrev_b64 v[4:5], 2, v[18:19]
	v_add_co_u32 v4, vcc_lo, s18, v4
	s_delay_alu instid0(VALU_DEP_2) | instskip(SKIP_3) | instid1(VALU_DEP_1)
	v_add_co_ci_u32_e32 v5, vcc_lo, s19, v5, vcc_lo
	global_load_b32 v4, v[4:5], off
	s_waitcnt vmcnt(0)
	v_subrev_nc_u32_e32 v4, s5, v4
	v_sub_nc_u32_e32 v19, v4, v31
	s_delay_alu instid0(VALU_DEP_1)
	v_cmp_gt_u32_e64 s0, 64, v19
	v_cmpx_lt_u32_e32 63, v19
	s_xor_b32 s8, exec_lo, s8
; %bb.28:                               ;   in Loop: Header=BB25_27 Depth=2
	v_min_i32_e32 v44, v4, v44
                                        ; implicit-def: $vgpr19
; %bb.29:                               ;   in Loop: Header=BB25_27 Depth=2
	s_and_not1_saveexec_b32 s8, s8
	s_cbranch_execz .LBB25_34
; %bb.30:                               ;   in Loop: Header=BB25_27 Depth=2
	v_lshlrev_b64 v[4:5], 4, v[21:22]
	s_delay_alu instid0(VALU_DEP_1) | instskip(NEXT) | instid1(VALU_DEP_2)
	v_add_co_u32 v23, vcc_lo, s12, v4
	v_add_co_ci_u32_e32 v24, vcc_lo, s13, v5, vcc_lo
	v_lshlrev_b32_e32 v4, 6, v19
	v_add_nc_u32_e32 v19, v26, v19
	s_and_not1_b32 vcc_lo, exec_lo, s1
	global_load_b128 v[45:48], v[23:24], off
	v_add_nc_u32_e32 v17, v25, v4
	ds_load_b128 v[49:52], v17
	ds_load_b128 v[4:7], v17 offset:16
	s_waitcnt vmcnt(0) lgkmcnt(1)
	v_fma_f64 v[49:50], v[12:13], v[45:46], v[49:50]
	v_fma_f64 v[51:52], v[14:15], v[45:46], v[51:52]
	s_delay_alu instid0(VALU_DEP_2) | instskip(NEXT) | instid1(VALU_DEP_2)
	v_fma_f64 v[45:46], -v[14:15], v[47:48], v[49:50]
	v_fma_f64 v[47:48], v[12:13], v[47:48], v[51:52]
	ds_store_b8 v19, v43
	ds_store_b128 v17, v[45:48]
	s_cbranch_vccnz .LBB25_32
; %bb.31:                               ;   in Loop: Header=BB25_27 Depth=2
	s_clause 0x2
	global_load_b128 v[45:48], v[23:24], off offset:32
	global_load_b128 v[49:52], v[23:24], off offset:16
	;; [unrolled: 1-line block ×3, first 2 shown]
	ds_load_b128 v[57:60], v17 offset:32
	ds_load_b128 v[61:64], v17 offset:48
	s_waitcnt vmcnt(2) lgkmcnt(4)
	v_fma_f64 v[65:66], v[12:13], v[45:46], v[4:5]
	v_fma_f64 v[67:68], v[14:15], v[45:46], v[6:7]
	s_waitcnt vmcnt(1) lgkmcnt(1)
	v_fma_f64 v[57:58], v[12:13], v[49:50], v[57:58]
	v_fma_f64 v[59:60], v[14:15], v[49:50], v[59:60]
	;; [unrolled: 3-line block ×3, first 2 shown]
	v_fma_f64 v[45:46], -v[14:15], v[47:48], v[65:66]
	v_fma_f64 v[47:48], v[12:13], v[47:48], v[67:68]
	v_fma_f64 v[49:50], -v[14:15], v[51:52], v[57:58]
	v_fma_f64 v[51:52], v[12:13], v[51:52], v[59:60]
	;; [unrolled: 2-line block ×3, first 2 shown]
	ds_store_b128 v17, v[45:48] offset:16
	ds_store_b128 v17, v[49:52] offset:32
	ds_store_b128 v17, v[53:56] offset:48
	s_cbranch_execz .LBB25_33
	s_branch .LBB25_34
.LBB25_32:                              ;   in Loop: Header=BB25_27 Depth=2
.LBB25_33:                              ;   in Loop: Header=BB25_27 Depth=2
	s_clause 0x2
	global_load_b128 v[45:48], v[23:24], off offset:16
	global_load_b128 v[49:52], v[23:24], off offset:32
	;; [unrolled: 1-line block ×3, first 2 shown]
	ds_load_b128 v[57:60], v17 offset:32
	ds_load_b128 v[61:64], v17 offset:48
	s_waitcnt vmcnt(2) lgkmcnt(4)
	v_fma_f64 v[4:5], v[12:13], v[45:46], v[4:5]
	v_fma_f64 v[6:7], v[14:15], v[45:46], v[6:7]
	s_waitcnt vmcnt(1) lgkmcnt(1)
	v_fma_f64 v[23:24], v[12:13], v[49:50], v[57:58]
	v_fma_f64 v[49:50], v[14:15], v[49:50], v[59:60]
	;; [unrolled: 3-line block ×3, first 2 shown]
	v_fma_f64 v[4:5], -v[14:15], v[47:48], v[4:5]
	v_fma_f64 v[6:7], v[12:13], v[47:48], v[6:7]
	v_fma_f64 v[45:46], -v[14:15], v[51:52], v[23:24]
	v_fma_f64 v[47:48], v[12:13], v[51:52], v[49:50]
	;; [unrolled: 2-line block ×3, first 2 shown]
	ds_store_b128 v17, v[4:7] offset:16
	ds_store_b128 v17, v[45:48] offset:32
	;; [unrolled: 1-line block ×3, first 2 shown]
.LBB25_34:                              ;   in Loop: Header=BB25_27 Depth=2
	s_or_b32 exec_lo, exec_lo, s8
	s_mov_b32 s8, -1
	s_and_saveexec_b32 s9, s0
	s_cbranch_execz .LBB25_26
; %bb.35:                               ;   in Loop: Header=BB25_27 Depth=2
	v_add_nc_u32_e32 v18, 64, v18
	v_add_nc_u32_e32 v21, 0x100, v21
	s_delay_alu instid0(VALU_DEP_2)
	v_cmp_ge_i32_e32 vcc_lo, v18, v28
	s_or_not1_b32 s8, vcc_lo, exec_lo
	s_branch .LBB25_26
.LBB25_36:                              ;   in Loop: Header=BB25_11 Depth=1
	s_or_b32 exec_lo, exec_lo, s7
.LBB25_37:                              ;   in Loop: Header=BB25_11 Depth=1
	s_delay_alu instid0(SALU_CYCLE_1)
	s_or_b32 exec_lo, exec_lo, s6
	s_waitcnt lgkmcnt(0)
	buffer_gl0_inv
	ds_load_u8 v4, v42
	s_mov_b32 s6, exec_lo
	s_waitcnt lgkmcnt(0)
	v_and_b32_e32 v5, 1, v4
	v_cmp_ne_u16_e32 vcc_lo, 0, v4
	s_delay_alu instid0(VALU_DEP_2)
	v_cmpx_eq_u32_e32 1, v5
	s_cbranch_execz .LBB25_10
; %bb.38:                               ;   in Loop: Header=BB25_11 Depth=1
	v_and_b32_e32 v4, vcc_lo, v20
	v_add_nc_u32_e32 v17, v32, v31
	s_delay_alu instid0(VALU_DEP_2) | instskip(NEXT) | instid1(VALU_DEP_1)
	v_bcnt_u32_b32 v4, v4, 0
	v_add3_u32 v23, v29, v4, -1
	ds_load_2addr_b64 v[4:7], v30 offset1:1
	ds_load_2addr_b64 v[45:48], v40 offset1:1
	;; [unrolled: 1-line block ×4, first 2 shown]
	v_ashrrev_i32_e32 v24, 31, v23
	v_lshlrev_b32_e32 v21, 2, v23
	s_delay_alu instid0(VALU_DEP_2) | instskip(NEXT) | instid1(VALU_DEP_2)
	v_lshlrev_b64 v[23:24], 2, v[23:24]
	v_lshlrev_b64 v[57:58], 4, v[21:22]
	s_delay_alu instid0(VALU_DEP_2) | instskip(NEXT) | instid1(VALU_DEP_1)
	v_add_co_u32 v23, s0, s20, v23
	v_add_co_ci_u32_e64 v24, s0, s21, v24, s0
	s_delay_alu instid0(VALU_DEP_3) | instskip(NEXT) | instid1(VALU_DEP_1)
	v_add_co_u32 v57, s0, s22, v57
	v_add_co_ci_u32_e64 v58, s0, s23, v58, s0
	global_store_b32 v[23:24], v17, off
	s_waitcnt lgkmcnt(3)
	global_store_b128 v[57:58], v[4:7], off
	s_waitcnt lgkmcnt(2)
	global_store_b128 v[57:58], v[45:48], off offset:16
	s_waitcnt lgkmcnt(1)
	global_store_b128 v[57:58], v[49:52], off offset:32
	;; [unrolled: 2-line block ×3, first 2 shown]
	s_branch .LBB25_10
.LBB25_39:
	s_endpgm
	.section	.rodata,"a",@progbits
	.p2align	6, 0x0
	.amdhsa_kernel _ZN9rocsparseL39bsrgeam_wf_per_row_multipass_2_3_kernelILj256ELj2ELj64E21rocsparse_complex_numIdEEEv20rocsparse_direction_iiiNS_24const_host_device_scalarIT2_EEPKiS8_PKS5_S6_S8_S8_SA_S8_PiPS5_21rocsparse_index_base_SD_SD_b
		.amdhsa_group_segment_fixed_size 18688
		.amdhsa_private_segment_fixed_size 16
		.amdhsa_kernarg_size 136
		.amdhsa_user_sgpr_count 15
		.amdhsa_user_sgpr_dispatch_ptr 1
		.amdhsa_user_sgpr_queue_ptr 0
		.amdhsa_user_sgpr_kernarg_segment_ptr 1
		.amdhsa_user_sgpr_dispatch_id 0
		.amdhsa_user_sgpr_private_segment_size 0
		.amdhsa_wavefront_size32 1
		.amdhsa_uses_dynamic_stack 0
		.amdhsa_enable_private_segment 1
		.amdhsa_system_sgpr_workgroup_id_x 1
		.amdhsa_system_sgpr_workgroup_id_y 0
		.amdhsa_system_sgpr_workgroup_id_z 0
		.amdhsa_system_sgpr_workgroup_info 0
		.amdhsa_system_vgpr_workitem_id 2
		.amdhsa_next_free_vgpr 69
		.amdhsa_next_free_sgpr 28
		.amdhsa_reserve_vcc 1
		.amdhsa_float_round_mode_32 0
		.amdhsa_float_round_mode_16_64 0
		.amdhsa_float_denorm_mode_32 3
		.amdhsa_float_denorm_mode_16_64 3
		.amdhsa_dx10_clamp 1
		.amdhsa_ieee_mode 1
		.amdhsa_fp16_overflow 0
		.amdhsa_workgroup_processor_mode 1
		.amdhsa_memory_ordered 1
		.amdhsa_forward_progress 0
		.amdhsa_shared_vgpr_count 0
		.amdhsa_exception_fp_ieee_invalid_op 0
		.amdhsa_exception_fp_denorm_src 0
		.amdhsa_exception_fp_ieee_div_zero 0
		.amdhsa_exception_fp_ieee_overflow 0
		.amdhsa_exception_fp_ieee_underflow 0
		.amdhsa_exception_fp_ieee_inexact 0
		.amdhsa_exception_int_div_zero 0
	.end_amdhsa_kernel
	.section	.text._ZN9rocsparseL39bsrgeam_wf_per_row_multipass_2_3_kernelILj256ELj2ELj64E21rocsparse_complex_numIdEEEv20rocsparse_direction_iiiNS_24const_host_device_scalarIT2_EEPKiS8_PKS5_S6_S8_S8_SA_S8_PiPS5_21rocsparse_index_base_SD_SD_b,"axG",@progbits,_ZN9rocsparseL39bsrgeam_wf_per_row_multipass_2_3_kernelILj256ELj2ELj64E21rocsparse_complex_numIdEEEv20rocsparse_direction_iiiNS_24const_host_device_scalarIT2_EEPKiS8_PKS5_S6_S8_S8_SA_S8_PiPS5_21rocsparse_index_base_SD_SD_b,comdat
.Lfunc_end25:
	.size	_ZN9rocsparseL39bsrgeam_wf_per_row_multipass_2_3_kernelILj256ELj2ELj64E21rocsparse_complex_numIdEEEv20rocsparse_direction_iiiNS_24const_host_device_scalarIT2_EEPKiS8_PKS5_S6_S8_S8_SA_S8_PiPS5_21rocsparse_index_base_SD_SD_b, .Lfunc_end25-_ZN9rocsparseL39bsrgeam_wf_per_row_multipass_2_3_kernelILj256ELj2ELj64E21rocsparse_complex_numIdEEEv20rocsparse_direction_iiiNS_24const_host_device_scalarIT2_EEPKiS8_PKS5_S6_S8_S8_SA_S8_PiPS5_21rocsparse_index_base_SD_SD_b
                                        ; -- End function
	.section	.AMDGPU.csdata,"",@progbits
; Kernel info:
; codeLenInByte = 2700
; NumSgprs: 30
; NumVgprs: 69
; ScratchSize: 16
; MemoryBound: 0
; FloatMode: 240
; IeeeMode: 1
; LDSByteSize: 18688 bytes/workgroup (compile time only)
; SGPRBlocks: 3
; VGPRBlocks: 8
; NumSGPRsForWavesPerEU: 30
; NumVGPRsForWavesPerEU: 69
; Occupancy: 14
; WaveLimiterHint : 1
; COMPUTE_PGM_RSRC2:SCRATCH_EN: 1
; COMPUTE_PGM_RSRC2:USER_SGPR: 15
; COMPUTE_PGM_RSRC2:TRAP_HANDLER: 0
; COMPUTE_PGM_RSRC2:TGID_X_EN: 1
; COMPUTE_PGM_RSRC2:TGID_Y_EN: 0
; COMPUTE_PGM_RSRC2:TGID_Z_EN: 0
; COMPUTE_PGM_RSRC2:TIDIG_COMP_CNT: 2
	.section	.text._ZN9rocsparseL39bsrgeam_wf_per_row_multipass_2_3_kernelILj256ELj3ELj32E21rocsparse_complex_numIdEEEv20rocsparse_direction_iiiNS_24const_host_device_scalarIT2_EEPKiS8_PKS5_S6_S8_S8_SA_S8_PiPS5_21rocsparse_index_base_SD_SD_b,"axG",@progbits,_ZN9rocsparseL39bsrgeam_wf_per_row_multipass_2_3_kernelILj256ELj3ELj32E21rocsparse_complex_numIdEEEv20rocsparse_direction_iiiNS_24const_host_device_scalarIT2_EEPKiS8_PKS5_S6_S8_S8_SA_S8_PiPS5_21rocsparse_index_base_SD_SD_b,comdat
	.globl	_ZN9rocsparseL39bsrgeam_wf_per_row_multipass_2_3_kernelILj256ELj3ELj32E21rocsparse_complex_numIdEEEv20rocsparse_direction_iiiNS_24const_host_device_scalarIT2_EEPKiS8_PKS5_S6_S8_S8_SA_S8_PiPS5_21rocsparse_index_base_SD_SD_b ; -- Begin function _ZN9rocsparseL39bsrgeam_wf_per_row_multipass_2_3_kernelILj256ELj3ELj32E21rocsparse_complex_numIdEEEv20rocsparse_direction_iiiNS_24const_host_device_scalarIT2_EEPKiS8_PKS5_S6_S8_S8_SA_S8_PiPS5_21rocsparse_index_base_SD_SD_b
	.p2align	8
	.type	_ZN9rocsparseL39bsrgeam_wf_per_row_multipass_2_3_kernelILj256ELj3ELj32E21rocsparse_complex_numIdEEEv20rocsparse_direction_iiiNS_24const_host_device_scalarIT2_EEPKiS8_PKS5_S6_S8_S8_SA_S8_PiPS5_21rocsparse_index_base_SD_SD_b,@function
_ZN9rocsparseL39bsrgeam_wf_per_row_multipass_2_3_kernelILj256ELj3ELj32E21rocsparse_complex_numIdEEEv20rocsparse_direction_iiiNS_24const_host_device_scalarIT2_EEPKiS8_PKS5_S6_S8_S8_SA_S8_PiPS5_21rocsparse_index_base_SD_SD_b: ; @_ZN9rocsparseL39bsrgeam_wf_per_row_multipass_2_3_kernelILj256ELj3ELj32E21rocsparse_complex_numIdEEEv20rocsparse_direction_iiiNS_24const_host_device_scalarIT2_EEPKiS8_PKS5_S6_S8_S8_SA_S8_PiPS5_21rocsparse_index_base_SD_SD_b
; %bb.0:
	s_clause 0x1
	s_load_b128 s[4:7], s[2:3], 0x78
	s_load_b128 s[16:19], s[2:3], 0x10
	s_load_b64 s[12:13], s[0:1], 0x4
	s_mov_b64 s[0:1], src_shared_base
	v_and_b32_e32 v6, 0x3ff, v0
	s_load_b128 s[8:11], s[2:3], 0x38
	v_bfe_u32 v2, v0, 10, 10
	v_bfe_u32 v0, v0, 20, 10
	s_waitcnt lgkmcnt(0)
	s_bitcmp1_b32 s7, 0
	v_mov_b32_e32 v10, s18
	s_cselect_b32 s0, -1, 0
	v_mov_b32_e32 v11, s19
	s_and_b32 vcc_lo, s0, exec_lo
	s_cselect_b32 s7, s1, s17
	s_lshr_b32 s12, s12, 16
	v_mov_b32_e32 v5, s7
	s_mul_i32 s12, s12, s13
	s_xor_b32 s7, s0, -1
	v_mul_lo_u32 v1, s12, v6
	s_delay_alu instid0(VALU_DEP_1) | instskip(SKIP_1) | instid1(VALU_DEP_2)
	v_mad_u32_u24 v1, v2, s13, v1
	v_dual_mov_b32 v2, s8 :: v_dual_mov_b32 v3, s9
	v_add_lshl_u32 v7, v1, v0, 3
	v_dual_mov_b32 v0, s16 :: v_dual_mov_b32 v1, s17
	s_delay_alu instid0(VALU_DEP_2) | instskip(SKIP_1) | instid1(VALU_DEP_2)
	v_add_nc_u32_e32 v4, 0x9900, v7
	v_add_nc_u32_e32 v8, 0x100, v7
	v_cndmask_b32_e64 v4, s16, v4, s0
	ds_store_2addr_stride64_b64 v8, v[2:3], v[0:1] offset0:72 offset1:76
	v_add_nc_u32_e32 v0, 0x9100, v7
	flat_load_b64 v[8:9], v[4:5]
	s_cbranch_vccnz .LBB26_2
; %bb.1:
	v_dual_mov_b32 v1, s16 :: v_dual_mov_b32 v2, s17
	flat_load_b64 v[10:11], v[1:2] offset:8
.LBB26_2:
	s_and_b32 s12, s0, exec_lo
	s_cselect_b32 s1, s1, s9
	v_cndmask_b32_e64 v0, s8, v0, s0
	v_mov_b32_e32 v1, s1
	v_dual_mov_b32 v15, s11 :: v_dual_mov_b32 v14, s10
	s_and_not1_b32 vcc_lo, exec_lo, s7
	flat_load_b64 v[12:13], v[0:1]
	s_cbranch_vccnz .LBB26_4
; %bb.3:
	v_dual_mov_b32 v0, s8 :: v_dual_mov_b32 v1, s9
	flat_load_b64 v[14:15], v[0:1] offset:8
.LBB26_4:
	s_load_b128 s[8:11], s[2:3], 0x0
	v_lshrrev_b32_e32 v7, 5, v6
	s_lshl_b32 s0, s15, 3
	s_delay_alu instid0(VALU_DEP_1) | instid1(SALU_CYCLE_1)
	v_and_or_b32 v0, 0x7fffff8, s0, v7
	s_mov_b32 s0, exec_lo
	s_waitcnt lgkmcnt(0)
	s_delay_alu instid0(VALU_DEP_1)
	v_cmpx_gt_i32_e64 s9, v0
	s_cbranch_execz .LBB26_39
; %bb.5:
	s_clause 0x2
	s_load_b128 s[12:15], s[2:3], 0x20
	s_load_b128 s[16:19], s[2:3], 0x48
	s_load_b64 s[0:1], s[2:3], 0x60
	v_lshlrev_b32_e32 v0, 2, v0
	s_waitcnt lgkmcnt(0)
	s_clause 0x2
	global_load_b64 v[4:5], v0, s[12:13]
	global_load_b64 v[2:3], v0, s[16:17]
	global_load_b32 v16, v0, s[0:1]
	s_waitcnt vmcnt(2)
	v_subrev_nc_u32_e32 v0, s4, v4
	v_cmp_lt_i32_e32 vcc_lo, v4, v5
	v_mov_b32_e32 v4, s10
	s_and_saveexec_b32 s0, vcc_lo
	s_cbranch_execz .LBB26_7
; %bb.6:
	v_ashrrev_i32_e32 v1, 31, v0
	s_delay_alu instid0(VALU_DEP_1) | instskip(NEXT) | instid1(VALU_DEP_1)
	v_lshlrev_b64 v[17:18], 2, v[0:1]
	v_add_co_u32 v17, vcc_lo, s14, v17
	s_delay_alu instid0(VALU_DEP_2)
	v_add_co_ci_u32_e32 v18, vcc_lo, s15, v18, vcc_lo
	global_load_b32 v1, v[17:18], off
	s_waitcnt vmcnt(0)
	v_subrev_nc_u32_e32 v4, s4, v1
.LBB26_7:
	s_or_b32 exec_lo, exec_lo, s0
	s_clause 0x2
	s_load_b128 s[20:23], s[2:3], 0x68
	s_load_b64 s[12:13], s[2:3], 0x58
	s_load_b64 s[2:3], s[2:3], 0x30
	s_waitcnt vmcnt(1)
	v_subrev_nc_u32_e32 v1, s5, v2
	v_cmp_lt_i32_e32 vcc_lo, v2, v3
	v_mov_b32_e32 v2, s10
	s_and_saveexec_b32 s0, vcc_lo
	s_cbranch_execz .LBB26_9
; %bb.8:
	v_ashrrev_i32_e32 v2, 31, v1
	s_delay_alu instid0(VALU_DEP_1) | instskip(NEXT) | instid1(VALU_DEP_1)
	v_lshlrev_b64 v[17:18], 2, v[1:2]
	v_add_co_u32 v17, vcc_lo, s18, v17
	s_delay_alu instid0(VALU_DEP_2)
	v_add_co_ci_u32_e32 v18, vcc_lo, s19, v18, vcc_lo
	global_load_b32 v2, v[17:18], off
	s_waitcnt vmcnt(0)
	v_subrev_nc_u32_e32 v2, s5, v2
.LBB26_9:
	s_or_b32 exec_lo, exec_lo, s0
	v_subrev_nc_u32_e32 v38, s5, v3
	v_mbcnt_lo_u32_b32 v3, -1, 0
	s_movk_i32 s0, 0xe0
	v_subrev_nc_u32_e32 v35, s4, v5
	v_and_b32_e32 v5, 31, v6
	v_and_or_b32 v36, v6, s0, 0x9000
	v_xor_b32_e32 v6, 8, v3
	s_waitcnt vmcnt(0)
	v_subrev_nc_u32_e32 v39, s6, v16
	v_xor_b32_e32 v19, 4, v3
	v_add_nc_u32_e32 v16, v0, v5
	v_xor_b32_e32 v0, 16, v3
	v_cmp_gt_i32_e64 s0, 32, v6
	v_mul_u32_u24_e32 v7, 0x120, v7
	v_xor_b32_e32 v20, 2, v3
	s_cmp_eq_u32 s8, 0
	v_cmp_gt_i32_e32 vcc_lo, 32, v0
	v_cndmask_b32_e64 v6, v3, v6, s0
	v_cmp_gt_i32_e64 s0, 32, v19
	v_xor_b32_e32 v21, 1, v3
	s_mov_b32 s24, 0
	v_cndmask_b32_e32 v0, v3, v0, vcc_lo
	s_cselect_b32 vcc_lo, -1, 0
	v_lshlrev_b32_e32 v37, 4, v7
	v_cndmask_b32_e64 v19, v3, v19, s0
	v_cmp_gt_i32_e64 s0, 32, v20
	s_mov_b32 s25, s24
	s_mov_b32 s26, s24
	v_mad_u32_u24 v40, 0x90, v5, v37
	s_mov_b32 s27, s24
	v_add_nc_u32_e32 v18, v1, v5
	v_xor_b32_e32 v1, 31, v5
	v_cndmask_b32_e64 v20, v3, v20, s0
	v_cmp_gt_i32_e64 s0, 32, v21
	v_min_i32_e32 v59, v2, v4
	v_add_nc_u32_e32 v7, 0x60, v40
	v_lshrrev_b32_e64 v41, v1, -1
	v_lshlrev_b32_e32 v43, 2, v0
	v_dual_mov_b32 v57, 1 :: v_dual_add_nc_u32 v0, 32, v40
	v_add_nc_u32_e32 v1, 0x50, v40
	v_add_nc_u32_e32 v17, 0x70, v40
	v_cndmask_b32_e64 v3, v3, v21, s0
	v_lshlrev_b32_e32 v48, 2, v20
	v_mov_b32_e32 v20, 0
	s_delay_alu instid0(VALU_DEP_4) | instskip(SKIP_4) | instid1(VALU_DEP_4)
	v_dual_cndmask_b32 v53, v17, v1 :: v_dual_add_nc_u32 v2, 16, v40
	v_dual_cndmask_b32 v55, v1, v17 :: v_dual_add_nc_u32 v4, 48, v40
	v_lshlrev_b32_e32 v47, 2, v19
	v_lshlrev_b32_e32 v49, 2, v3
	v_cndmask_b32_e32 v51, v7, v0, vcc_lo
	v_cndmask_b32_e32 v52, v2, v4, vcc_lo
	v_cndmask_b32_e32 v50, v4, v2, vcc_lo
	v_cndmask_b32_e32 v54, v0, v7, vcc_lo
	v_mov_b32_e32 v0, s24
	v_dual_mov_b32 v3, s27 :: v_dual_add_nc_u32 v42, s6, v5
	v_add_nc_u32_e32 v44, 64, v40
	v_add_nc_u32_e32 v45, 0x80, v40
	v_lshlrev_b32_e32 v46, 2, v6
	v_dual_mov_b32 v1, s25 :: v_dual_add_nc_u32 v56, v36, v5
	v_mov_b32_e32 v2, s26
	s_cmp_lg_u32 s8, 0
	s_cselect_b32 s1, -1, 0
	s_branch .LBB26_11
.LBB26_10:                              ;   in Loop: Header=BB26_11 Depth=1
	s_or_b32 exec_lo, exec_lo, s6
	ds_bpermute_b32 v4, v43, v58
	s_bcnt1_i32_b32 s6, vcc_lo
	s_delay_alu instid0(SALU_CYCLE_1)
	v_add_nc_u32_e32 v39, s6, v39
	s_waitcnt lgkmcnt(0)
	v_min_i32_e32 v4, v4, v58
	ds_bpermute_b32 v5, v46, v4
	s_waitcnt lgkmcnt(0)
	v_min_i32_e32 v4, v5, v4
	ds_bpermute_b32 v5, v47, v4
	;; [unrolled: 3-line block ×4, first 2 shown]
	s_waitcnt lgkmcnt(0)
	v_min_i32_e32 v59, v5, v4
	s_delay_alu instid0(VALU_DEP_1) | instskip(NEXT) | instid1(VALU_DEP_1)
	v_cmp_le_i32_e64 s0, s10, v59
	s_or_b32 s24, s0, s24
	s_delay_alu instid0(SALU_CYCLE_1)
	s_and_not1_b32 exec_lo, exec_lo, s24
	s_cbranch_execz .LBB26_39
.LBB26_11:                              ; =>This Loop Header: Depth=1
                                        ;     Child Loop BB26_14 Depth 2
                                        ;     Child Loop BB26_27 Depth 2
	v_mov_b32_e32 v58, s10
	s_mov_b32 s6, exec_lo
	ds_store_b128 v40, v[0:3]
	ds_store_b128 v40, v[0:3] offset:16
	ds_store_b128 v40, v[0:3] offset:32
	;; [unrolled: 1-line block ×7, first 2 shown]
	ds_store_b8 v56, v20
	ds_store_b128 v40, v[0:3] offset:128
	s_waitcnt lgkmcnt(0)
	buffer_gl0_inv
	v_cmpx_lt_i32_e64 v16, v35
	s_cbranch_execz .LBB26_24
; %bb.12:                               ;   in Loop: Header=BB26_11 Depth=1
	v_mad_u64_u32 v[4:5], null, v16, 9, 8
	v_mov_b32_e32 v58, s10
	s_mov_b32 s7, 0
	s_branch .LBB26_14
.LBB26_13:                              ;   in Loop: Header=BB26_14 Depth=2
	s_or_b32 exec_lo, exec_lo, s9
	s_delay_alu instid0(SALU_CYCLE_1) | instskip(NEXT) | instid1(SALU_CYCLE_1)
	s_and_b32 s0, exec_lo, s8
	s_or_b32 s7, s0, s7
	s_delay_alu instid0(SALU_CYCLE_1)
	s_and_not1_b32 exec_lo, exec_lo, s7
	s_cbranch_execz .LBB26_23
.LBB26_14:                              ;   Parent Loop BB26_11 Depth=1
                                        ; =>  This Inner Loop Header: Depth=2
	v_ashrrev_i32_e32 v17, 31, v16
	s_mov_b32 s8, exec_lo
	s_delay_alu instid0(VALU_DEP_1) | instskip(NEXT) | instid1(VALU_DEP_1)
	v_lshlrev_b64 v[5:6], 2, v[16:17]
	v_add_co_u32 v5, vcc_lo, s14, v5
	s_delay_alu instid0(VALU_DEP_2) | instskip(SKIP_3) | instid1(VALU_DEP_1)
	v_add_co_ci_u32_e32 v6, vcc_lo, s15, v6, vcc_lo
	global_load_b32 v5, v[5:6], off
	s_waitcnt vmcnt(0)
	v_subrev_nc_u32_e32 v6, s4, v5
	v_sub_nc_u32_e32 v5, v6, v59
	s_delay_alu instid0(VALU_DEP_1)
	v_cmp_gt_u32_e64 s0, 32, v5
	v_cmpx_lt_u32_e32 31, v5
	s_xor_b32 s8, exec_lo, s8
; %bb.15:                               ;   in Loop: Header=BB26_14 Depth=2
	v_min_i32_e32 v58, v6, v58
                                        ; implicit-def: $vgpr5
; %bb.16:                               ;   in Loop: Header=BB26_14 Depth=2
	s_and_not1_saveexec_b32 s8, s8
	s_cbranch_execz .LBB26_21
; %bb.17:                               ;   in Loop: Header=BB26_14 Depth=2
	v_add_nc_u32_e32 v19, -8, v4
	v_add_nc_u32_e32 v29, -7, v4
	;; [unrolled: 1-line block ×4, first 2 shown]
	s_delay_alu instid0(VALU_DEP_4) | instskip(SKIP_1) | instid1(VALU_DEP_2)
	v_lshlrev_b64 v[6:7], 4, v[19:20]
	v_add_nc_u32_e32 v19, -5, v4
	v_add_co_u32 v6, vcc_lo, s2, v6
	s_delay_alu instid0(VALU_DEP_3)
	v_add_co_ci_u32_e32 v7, vcc_lo, s3, v7, vcc_lo
	s_and_not1_b32 vcc_lo, exec_lo, s1
	global_load_b128 v[21:24], v[6:7], off
	s_waitcnt vmcnt(0)
	v_mul_f64 v[6:7], v[23:24], -v[10:11]
	v_mul_f64 v[23:24], v[8:9], v[23:24]
	s_delay_alu instid0(VALU_DEP_2) | instskip(NEXT) | instid1(VALU_DEP_2)
	v_fma_f64 v[30:31], v[8:9], v[21:22], v[6:7]
	v_fma_f64 v[32:33], v[10:11], v[21:22], v[23:24]
	v_mul_lo_u32 v6, 0x90, v5
	v_add_nc_u32_e32 v5, v36, v5
	v_add_nc_u32_e32 v21, -2, v4
	v_add_nc_u32_e32 v23, -3, v4
	s_delay_alu instid0(VALU_DEP_4)
	v_add_nc_u32_e32 v17, v37, v6
	v_add_nc_u32_e32 v6, -1, v4
	ds_store_b8 v5, v57
	ds_store_b128 v17, v[30:33]
	s_cbranch_vccnz .LBB26_19
; %bb.18:                               ;   in Loop: Header=BB26_14 Depth=2
	v_mov_b32_e32 v22, v20
	v_lshlrev_b64 v[31:32], 4, v[19:20]
	v_mov_b32_e32 v30, v20
	v_mov_b32_e32 v26, v20
	;; [unrolled: 1-line block ×3, first 2 shown]
	v_lshlrev_b64 v[33:34], 4, v[21:22]
	v_mov_b32_e32 v28, v20
	v_add_co_u32 v31, vcc_lo, s2, v31
	v_lshlrev_b64 v[64:65], 4, v[29:30]
	v_add_co_ci_u32_e32 v32, vcc_lo, s3, v32, vcc_lo
	v_add_co_u32 v60, vcc_lo, s2, v33
	v_lshlrev_b64 v[66:67], 4, v[25:26]
	v_add_co_ci_u32_e32 v61, vcc_lo, s3, v34, vcc_lo
	v_add_co_u32 v64, vcc_lo, s2, v64
	v_lshlrev_b64 v[68:69], 4, v[6:7]
	v_mov_b32_e32 v24, v20
	v_add_co_ci_u32_e32 v65, vcc_lo, s3, v65, vcc_lo
	v_add_co_u32 v70, vcc_lo, s2, v66
	v_lshlrev_b64 v[76:77], 4, v[27:28]
	v_mov_b32_e32 v5, v20
	v_add_co_ci_u32_e32 v71, vcc_lo, s3, v67, vcc_lo
	v_add_co_u32 v72, vcc_lo, s2, v68
	v_lshlrev_b64 v[78:79], 4, v[23:24]
	v_add_co_ci_u32_e32 v73, vcc_lo, s3, v69, vcc_lo
	v_add_co_u32 v76, vcc_lo, s2, v76
	v_lshlrev_b64 v[80:81], 4, v[4:5]
	v_add_co_ci_u32_e32 v77, vcc_lo, s3, v77, vcc_lo
	v_add_co_u32 v82, vcc_lo, s2, v78
	s_clause 0x1
	global_load_b128 v[30:33], v[31:32], off
	global_load_b128 v[60:63], v[60:61], off
	v_add_co_ci_u32_e32 v83, vcc_lo, s3, v79, vcc_lo
	v_add_co_u32 v84, vcc_lo, s2, v80
	s_clause 0x2
	global_load_b128 v[64:67], v[64:65], off
	global_load_b128 v[68:71], v[70:71], off
	;; [unrolled: 1-line block ×3, first 2 shown]
	v_add_co_ci_u32_e32 v85, vcc_lo, s3, v81, vcc_lo
	s_clause 0x2
	global_load_b128 v[76:79], v[76:77], off
	global_load_b128 v[80:83], v[82:83], off
	;; [unrolled: 1-line block ×3, first 2 shown]
	s_waitcnt vmcnt(7)
	v_mul_f64 v[88:89], v[32:33], -v[10:11]
	v_mul_f64 v[32:33], v[8:9], v[32:33]
	s_waitcnt vmcnt(6)
	v_mul_f64 v[90:91], v[62:63], -v[10:11]
	v_mul_f64 v[62:63], v[8:9], v[62:63]
	;; [unrolled: 3-line block ×8, first 2 shown]
	v_fma_f64 v[86:87], v[8:9], v[30:31], v[88:89]
	v_fma_f64 v[88:89], v[10:11], v[30:31], v[32:33]
	;; [unrolled: 1-line block ×16, first 2 shown]
	ds_store_b128 v17, v[86:89] offset:16
	ds_store_b128 v17, v[30:33] offset:32
	;; [unrolled: 1-line block ×8, first 2 shown]
	s_cbranch_execz .LBB26_20
	s_branch .LBB26_21
.LBB26_19:                              ;   in Loop: Header=BB26_14 Depth=2
.LBB26_20:                              ;   in Loop: Header=BB26_14 Depth=2
	v_mov_b32_e32 v30, v20
	v_mov_b32_e32 v28, v20
	;; [unrolled: 1-line block ×3, first 2 shown]
	v_lshlrev_b64 v[33:34], 4, v[19:20]
	v_mov_b32_e32 v24, v20
	v_lshlrev_b64 v[29:30], 4, v[29:30]
	v_lshlrev_b64 v[27:28], 4, v[27:28]
	;; [unrolled: 1-line block ×3, first 2 shown]
	v_mov_b32_e32 v22, v20
	v_lshlrev_b64 v[23:24], 4, v[23:24]
	v_mov_b32_e32 v7, v20
	v_add_co_u32 v29, vcc_lo, s2, v29
	v_add_co_ci_u32_e32 v30, vcc_lo, s3, v30, vcc_lo
	v_add_co_u32 v31, vcc_lo, s2, v27
	v_add_co_ci_u32_e32 v32, vcc_lo, s3, v28, vcc_lo
	v_add_co_u32 v33, vcc_lo, s2, v33
	v_add_co_ci_u32_e32 v34, vcc_lo, s3, v34, vcc_lo
	v_add_co_u32 v60, vcc_lo, s2, v60
	v_add_co_ci_u32_e32 v61, vcc_lo, s3, v61, vcc_lo
	v_lshlrev_b64 v[68:69], 4, v[21:22]
	v_add_co_u32 v64, vcc_lo, s2, v23
	v_add_co_ci_u32_e32 v65, vcc_lo, s3, v24, vcc_lo
	v_mov_b32_e32 v5, v20
	v_lshlrev_b64 v[6:7], 4, v[6:7]
	s_clause 0x4
	global_load_b128 v[25:28], v[29:30], off
	global_load_b128 v[29:32], v[31:32], off
	;; [unrolled: 1-line block ×5, first 2 shown]
	v_add_co_u32 v33, vcc_lo, s2, v68
	v_add_co_ci_u32_e32 v34, vcc_lo, s3, v69, vcc_lo
	v_lshlrev_b64 v[68:69], 4, v[4:5]
	v_add_co_u32 v5, vcc_lo, s2, v6
	v_add_co_ci_u32_e32 v6, vcc_lo, s3, v7, vcc_lo
	s_delay_alu instid0(VALU_DEP_3) | instskip(NEXT) | instid1(VALU_DEP_4)
	v_add_co_u32 v76, vcc_lo, s2, v68
	v_add_co_ci_u32_e32 v77, vcc_lo, s3, v69, vcc_lo
	s_clause 0x2
	global_load_b128 v[68:71], v[33:34], off
	global_load_b128 v[72:75], v[5:6], off
	;; [unrolled: 1-line block ×3, first 2 shown]
	s_waitcnt vmcnt(7)
	v_mul_f64 v[80:81], v[27:28], -v[10:11]
	s_waitcnt vmcnt(5)
	v_mul_f64 v[5:6], v[23:24], -v[10:11]
	v_mul_f64 v[23:24], v[8:9], v[23:24]
	v_mul_f64 v[27:28], v[8:9], v[27:28]
	v_mul_f64 v[82:83], v[31:32], -v[10:11]
	v_mul_f64 v[84:85], v[8:9], v[31:32]
	s_waitcnt vmcnt(4)
	v_mul_f64 v[86:87], v[62:63], -v[10:11]
	v_mul_f64 v[62:63], v[8:9], v[62:63]
	s_waitcnt vmcnt(3)
	;; [unrolled: 3-line block ×5, first 2 shown]
	v_mul_f64 v[94:95], v[78:79], -v[10:11]
	v_mul_f64 v[96:97], v[8:9], v[78:79]
	v_fma_f64 v[31:32], v[8:9], v[21:22], v[5:6]
	v_fma_f64 v[33:34], v[10:11], v[21:22], v[23:24]
	;; [unrolled: 1-line block ×16, first 2 shown]
	ds_store_b128 v17, v[21:24] offset:16
	ds_store_b128 v17, v[25:28] offset:32
	;; [unrolled: 1-line block ×8, first 2 shown]
.LBB26_21:                              ;   in Loop: Header=BB26_14 Depth=2
	s_or_b32 exec_lo, exec_lo, s8
	s_mov_b32 s8, -1
	s_and_saveexec_b32 s9, s0
	s_cbranch_execz .LBB26_13
; %bb.22:                               ;   in Loop: Header=BB26_14 Depth=2
	v_add_nc_u32_e32 v16, 32, v16
	v_add_nc_u32_e32 v4, 0x120, v4
	s_delay_alu instid0(VALU_DEP_2)
	v_cmp_ge_i32_e32 vcc_lo, v16, v35
	s_or_not1_b32 s8, vcc_lo, exec_lo
	s_branch .LBB26_13
.LBB26_23:                              ;   in Loop: Header=BB26_11 Depth=1
	s_or_b32 exec_lo, exec_lo, s7
.LBB26_24:                              ;   in Loop: Header=BB26_11 Depth=1
	s_delay_alu instid0(SALU_CYCLE_1) | instskip(NEXT) | instid1(SALU_CYCLE_1)
	s_or_b32 exec_lo, exec_lo, s6
	s_mov_b32 s6, exec_lo
	s_waitcnt lgkmcnt(0)
	buffer_gl0_inv
	v_cmpx_lt_i32_e64 v18, v38
	s_cbranch_execz .LBB26_37
; %bb.25:                               ;   in Loop: Header=BB26_11 Depth=1
	v_mad_u64_u32 v[21:22], null, v18, 9, 8
	s_mov_b32 s7, 0
	s_branch .LBB26_27
.LBB26_26:                              ;   in Loop: Header=BB26_27 Depth=2
	s_or_b32 exec_lo, exec_lo, s9
	s_delay_alu instid0(SALU_CYCLE_1) | instskip(NEXT) | instid1(SALU_CYCLE_1)
	s_and_b32 s0, exec_lo, s8
	s_or_b32 s7, s0, s7
	s_delay_alu instid0(SALU_CYCLE_1)
	s_and_not1_b32 exec_lo, exec_lo, s7
	s_cbranch_execz .LBB26_36
.LBB26_27:                              ;   Parent Loop BB26_11 Depth=1
                                        ; =>  This Inner Loop Header: Depth=2
	v_ashrrev_i32_e32 v19, 31, v18
	s_mov_b32 s8, exec_lo
	s_waitcnt lgkmcnt(2)
	s_delay_alu instid0(VALU_DEP_1) | instskip(NEXT) | instid1(VALU_DEP_1)
	v_lshlrev_b64 v[4:5], 2, v[18:19]
	v_add_co_u32 v4, vcc_lo, s18, v4
	s_delay_alu instid0(VALU_DEP_2) | instskip(SKIP_3) | instid1(VALU_DEP_1)
	v_add_co_ci_u32_e32 v5, vcc_lo, s19, v5, vcc_lo
	global_load_b32 v4, v[4:5], off
	s_waitcnt vmcnt(0)
	v_subrev_nc_u32_e32 v4, s5, v4
	v_sub_nc_u32_e32 v22, v4, v59
	s_delay_alu instid0(VALU_DEP_1)
	v_cmp_gt_u32_e64 s0, 32, v22
	v_cmpx_lt_u32_e32 31, v22
	s_xor_b32 s8, exec_lo, s8
; %bb.28:                               ;   in Loop: Header=BB26_27 Depth=2
	v_min_i32_e32 v58, v4, v58
                                        ; implicit-def: $vgpr22
; %bb.29:                               ;   in Loop: Header=BB26_27 Depth=2
	s_and_not1_saveexec_b32 s8, s8
	s_cbranch_execz .LBB26_34
; %bb.30:                               ;   in Loop: Header=BB26_27 Depth=2
	v_add_nc_u32_e32 v19, -8, v21
	v_add_nc_u32_e32 v33, -7, v21
	;; [unrolled: 1-line block ×3, first 2 shown]
	s_delay_alu instid0(VALU_DEP_3) | instskip(SKIP_1) | instid1(VALU_DEP_2)
	v_lshlrev_b64 v[4:5], 4, v[19:20]
	v_add_nc_u32_e32 v19, -5, v21
	v_add_co_u32 v4, vcc_lo, s12, v4
	s_delay_alu instid0(VALU_DEP_3) | instskip(SKIP_4) | instid1(VALU_DEP_2)
	v_add_co_ci_u32_e32 v5, vcc_lo, s13, v5, vcc_lo
	s_and_not1_b32 vcc_lo, exec_lo, s1
	global_load_b128 v[23:26], v[4:5], off
	v_mul_lo_u32 v4, 0x90, v22
	v_add_nc_u32_e32 v22, v36, v22
	v_add_nc_u32_e32 v17, v37, v4
	ds_load_b128 v[27:30], v17
	ds_load_b128 v[4:7], v17 offset:16
	s_waitcnt vmcnt(0) lgkmcnt(1)
	v_fma_f64 v[27:28], v[12:13], v[23:24], v[27:28]
	v_fma_f64 v[23:24], v[14:15], v[23:24], v[29:30]
	v_add_nc_u32_e32 v29, -4, v21
	s_delay_alu instid0(VALU_DEP_3) | instskip(NEXT) | instid1(VALU_DEP_3)
	v_fma_f64 v[60:61], -v[14:15], v[25:26], v[27:28]
	v_fma_f64 v[62:63], v[12:13], v[25:26], v[23:24]
	v_add_nc_u32_e32 v25, -2, v21
	v_add_nc_u32_e32 v23, -1, v21
	;; [unrolled: 1-line block ×3, first 2 shown]
	ds_store_b8 v22, v57
	ds_store_b128 v17, v[60:63]
	s_cbranch_vccnz .LBB26_32
; %bb.31:                               ;   in Loop: Header=BB26_27 Depth=2
	v_mov_b32_e32 v26, v20
	v_lshlrev_b64 v[60:61], 4, v[19:20]
	v_mov_b32_e32 v34, v20
	v_mov_b32_e32 v30, v20
	;; [unrolled: 1-line block ×3, first 2 shown]
	v_lshlrev_b64 v[62:63], 4, v[25:26]
	v_mov_b32_e32 v32, v20
	v_add_co_u32 v60, vcc_lo, s12, v60
	v_lshlrev_b64 v[68:69], 4, v[33:34]
	v_add_co_ci_u32_e32 v61, vcc_lo, s13, v61, vcc_lo
	v_add_co_u32 v64, vcc_lo, s12, v62
	v_lshlrev_b64 v[70:71], 4, v[29:30]
	v_add_co_ci_u32_e32 v65, vcc_lo, s13, v63, vcc_lo
	v_add_co_u32 v68, vcc_lo, s12, v68
	v_lshlrev_b64 v[72:73], 4, v[23:24]
	v_mov_b32_e32 v28, v20
	v_add_co_ci_u32_e32 v69, vcc_lo, s13, v69, vcc_lo
	v_add_co_u32 v74, vcc_lo, s12, v70
	v_lshlrev_b64 v[80:81], 4, v[31:32]
	v_mov_b32_e32 v22, v20
	v_add_co_ci_u32_e32 v75, vcc_lo, s13, v71, vcc_lo
	v_add_co_u32 v76, vcc_lo, s12, v72
	v_lshlrev_b64 v[82:83], 4, v[27:28]
	v_add_co_ci_u32_e32 v77, vcc_lo, s13, v73, vcc_lo
	v_add_co_u32 v80, vcc_lo, s12, v80
	v_lshlrev_b64 v[84:85], 4, v[21:22]
	v_add_co_ci_u32_e32 v81, vcc_lo, s13, v81, vcc_lo
	v_add_co_u32 v86, vcc_lo, s12, v82
	s_clause 0x1
	global_load_b128 v[60:63], v[60:61], off
	global_load_b128 v[64:67], v[64:65], off
	v_add_co_ci_u32_e32 v87, vcc_lo, s13, v83, vcc_lo
	v_add_co_u32 v88, vcc_lo, s12, v84
	s_clause 0x2
	global_load_b128 v[68:71], v[68:69], off
	global_load_b128 v[72:75], v[74:75], off
	;; [unrolled: 1-line block ×3, first 2 shown]
	v_add_co_ci_u32_e32 v89, vcc_lo, s13, v85, vcc_lo
	s_clause 0x2
	global_load_b128 v[80:83], v[80:81], off
	global_load_b128 v[84:87], v[86:87], off
	;; [unrolled: 1-line block ×3, first 2 shown]
	ds_load_b128 v[92:95], v17 offset:32
	ds_load_b128 v[96:99], v17 offset:48
	;; [unrolled: 1-line block ×7, first 2 shown]
	s_waitcnt vmcnt(7) lgkmcnt(9)
	v_fma_f64 v[120:121], v[12:13], v[60:61], v[4:5]
	v_fma_f64 v[122:123], v[14:15], v[60:61], v[6:7]
	s_waitcnt vmcnt(6) lgkmcnt(6)
	v_fma_f64 v[92:93], v[12:13], v[64:65], v[92:93]
	v_fma_f64 v[94:95], v[14:15], v[64:65], v[94:95]
	;; [unrolled: 3-line block ×8, first 2 shown]
	v_fma_f64 v[60:61], -v[14:15], v[62:63], v[120:121]
	v_fma_f64 v[62:63], v[12:13], v[62:63], v[122:123]
	v_fma_f64 v[64:65], -v[14:15], v[66:67], v[92:93]
	v_fma_f64 v[66:67], v[12:13], v[66:67], v[94:95]
	;; [unrolled: 2-line block ×8, first 2 shown]
	ds_store_b128 v17, v[60:63] offset:16
	ds_store_b128 v17, v[64:67] offset:32
	;; [unrolled: 1-line block ×8, first 2 shown]
	s_cbranch_execz .LBB26_33
	s_branch .LBB26_34
.LBB26_32:                              ;   in Loop: Header=BB26_27 Depth=2
.LBB26_33:                              ;   in Loop: Header=BB26_27 Depth=2
	v_mov_b32_e32 v34, v20
	v_mov_b32_e32 v32, v20
	v_mov_b32_e32 v30, v20
	v_lshlrev_b64 v[64:65], 4, v[19:20]
	v_mov_b32_e32 v28, v20
	v_lshlrev_b64 v[33:34], 4, v[33:34]
	v_lshlrev_b64 v[31:32], 4, v[31:32]
	;; [unrolled: 1-line block ×3, first 2 shown]
	v_mov_b32_e32 v26, v20
	v_lshlrev_b64 v[27:28], 4, v[27:28]
	v_mov_b32_e32 v24, v20
	v_add_co_u32 v33, vcc_lo, s12, v33
	v_add_co_ci_u32_e32 v34, vcc_lo, s13, v34, vcc_lo
	v_add_co_u32 v60, vcc_lo, s12, v31
	v_add_co_ci_u32_e32 v61, vcc_lo, s13, v32, vcc_lo
	v_lshlrev_b64 v[72:73], 4, v[25:26]
	s_clause 0x1
	global_load_b128 v[29:32], v[33:34], off
	global_load_b128 v[60:63], v[60:61], off
	v_add_co_u32 v33, vcc_lo, s12, v64
	v_add_co_ci_u32_e32 v34, vcc_lo, s13, v65, vcc_lo
	v_add_co_u32 v64, vcc_lo, s12, v66
	v_add_co_ci_u32_e32 v65, vcc_lo, s13, v67, vcc_lo
	;; [unrolled: 2-line block ×3, first 2 shown]
	v_mov_b32_e32 v22, v20
	v_lshlrev_b64 v[23:24], 4, v[23:24]
	s_clause 0x2
	global_load_b128 v[25:28], v[33:34], off
	global_load_b128 v[64:67], v[64:65], off
	;; [unrolled: 1-line block ×3, first 2 shown]
	v_add_co_u32 v33, vcc_lo, s12, v72
	v_add_co_ci_u32_e32 v34, vcc_lo, s13, v73, vcc_lo
	v_lshlrev_b64 v[72:73], 4, v[21:22]
	v_add_co_u32 v22, vcc_lo, s12, v23
	v_add_co_ci_u32_e32 v23, vcc_lo, s13, v24, vcc_lo
	s_delay_alu instid0(VALU_DEP_3) | instskip(NEXT) | instid1(VALU_DEP_4)
	v_add_co_u32 v80, vcc_lo, s12, v72
	v_add_co_ci_u32_e32 v81, vcc_lo, s13, v73, vcc_lo
	s_clause 0x2
	global_load_b128 v[72:75], v[33:34], off
	global_load_b128 v[76:79], v[22:23], off
	;; [unrolled: 1-line block ×3, first 2 shown]
	ds_load_b128 v[84:87], v17 offset:48
	ds_load_b128 v[88:91], v17 offset:32
	;; [unrolled: 1-line block ×7, first 2 shown]
	s_waitcnt vmcnt(7) lgkmcnt(9)
	v_fma_f64 v[33:34], v[12:13], v[29:30], v[4:5]
	v_fma_f64 v[29:30], v[14:15], v[29:30], v[6:7]
	s_waitcnt vmcnt(5) lgkmcnt(6)
	v_fma_f64 v[22:23], v[12:13], v[25:26], v[84:85]
	v_fma_f64 v[24:25], v[14:15], v[25:26], v[86:87]
	s_waitcnt lgkmcnt(5)
	v_fma_f64 v[84:85], v[12:13], v[60:61], v[88:89]
	v_fma_f64 v[60:61], v[14:15], v[60:61], v[90:91]
	s_waitcnt vmcnt(4) lgkmcnt(4)
	v_fma_f64 v[86:87], v[12:13], v[64:65], v[92:93]
	v_fma_f64 v[64:65], v[14:15], v[64:65], v[94:95]
	s_waitcnt vmcnt(3) lgkmcnt(3)
	;; [unrolled: 3-line block ×5, first 2 shown]
	v_fma_f64 v[94:95], v[12:13], v[80:81], v[108:109]
	v_fma_f64 v[80:81], v[14:15], v[80:81], v[110:111]
	v_fma_f64 v[4:5], -v[14:15], v[27:28], v[22:23]
	v_fma_f64 v[6:7], v[12:13], v[27:28], v[24:25]
	v_fma_f64 v[22:23], -v[14:15], v[31:32], v[33:34]
	;; [unrolled: 2-line block ×8, first 2 shown]
	v_fma_f64 v[74:75], v[12:13], v[82:83], v[80:81]
	ds_store_b128 v17, v[22:25] offset:16
	ds_store_b128 v17, v[26:29] offset:32
	;; [unrolled: 1-line block ×8, first 2 shown]
.LBB26_34:                              ;   in Loop: Header=BB26_27 Depth=2
	s_or_b32 exec_lo, exec_lo, s8
	s_mov_b32 s8, -1
	s_and_saveexec_b32 s9, s0
	s_cbranch_execz .LBB26_26
; %bb.35:                               ;   in Loop: Header=BB26_27 Depth=2
	v_add_nc_u32_e32 v18, 32, v18
	v_add_nc_u32_e32 v21, 0x120, v21
	s_delay_alu instid0(VALU_DEP_2)
	v_cmp_ge_i32_e32 vcc_lo, v18, v38
	s_or_not1_b32 s8, vcc_lo, exec_lo
	s_branch .LBB26_26
.LBB26_36:                              ;   in Loop: Header=BB26_11 Depth=1
	s_or_b32 exec_lo, exec_lo, s7
.LBB26_37:                              ;   in Loop: Header=BB26_11 Depth=1
	s_delay_alu instid0(SALU_CYCLE_1)
	s_or_b32 exec_lo, exec_lo, s6
	s_waitcnt lgkmcnt(0)
	buffer_gl0_inv
	ds_load_u8 v4, v56
	s_mov_b32 s6, exec_lo
	s_waitcnt lgkmcnt(0)
	v_and_b32_e32 v5, 1, v4
	v_cmp_ne_u16_e32 vcc_lo, 0, v4
	s_delay_alu instid0(VALU_DEP_2)
	v_cmpx_eq_u32_e32 1, v5
	s_cbranch_execz .LBB26_10
; %bb.38:                               ;   in Loop: Header=BB26_11 Depth=1
	v_and_b32_e32 v4, vcc_lo, v41
	v_dual_mov_b32 v6, v20 :: v_dual_add_nc_u32 v17, v42, v59
	s_delay_alu instid0(VALU_DEP_2) | instskip(NEXT) | instid1(VALU_DEP_1)
	v_bcnt_u32_b32 v4, v4, 0
	v_add3_u32 v4, v39, v4, -1
	s_delay_alu instid0(VALU_DEP_1)
	v_ashrrev_i32_e32 v5, 31, v4
	v_lshl_add_u32 v19, v4, 3, v4
	v_mov_b32_e32 v22, v20
	v_mov_b32_e32 v24, v20
	;; [unrolled: 1-line block ×3, first 2 shown]
	v_lshlrev_b64 v[27:28], 2, v[4:5]
	v_add_nc_u32_e32 v23, 3, v19
	v_add_nc_u32_e32 v5, 1, v19
	;; [unrolled: 1-line block ×3, first 2 shown]
	v_lshlrev_b64 v[29:30], 4, v[19:20]
	v_add_nc_u32_e32 v25, 4, v19
	s_delay_alu instid0(VALU_DEP_4) | instskip(NEXT) | instid1(VALU_DEP_4)
	v_lshlrev_b64 v[4:5], 4, v[5:6]
	v_lshlrev_b64 v[6:7], 4, v[21:22]
	;; [unrolled: 1-line block ×3, first 2 shown]
	v_add_co_u32 v23, s0, s20, v27
	s_delay_alu instid0(VALU_DEP_1) | instskip(SKIP_1) | instid1(VALU_DEP_1)
	v_add_co_ci_u32_e64 v24, s0, s21, v28, s0
	v_add_co_u32 v33, s0, s22, v29
	v_add_co_ci_u32_e64 v34, s0, s23, v30, s0
	v_add_co_u32 v79, s0, s22, v4
	s_delay_alu instid0(VALU_DEP_1) | instskip(SKIP_1) | instid1(VALU_DEP_1)
	v_add_co_ci_u32_e64 v80, s0, s23, v5, s0
	v_add_co_u32 v81, s0, s22, v6
	v_add_co_ci_u32_e64 v82, s0, s23, v7, s0
	v_add_co_u32 v83, s0, s22, v21
	s_delay_alu instid0(VALU_DEP_1)
	v_add_co_ci_u32_e64 v84, s0, s23, v22, s0
	v_mov_b32_e32 v22, v20
	v_lshlrev_b64 v[4:5], 4, v[25:26]
	v_dual_mov_b32 v7, v20 :: v_dual_add_nc_u32 v6, 5, v19
	v_add_nc_u32_e32 v21, 7, v19
	global_store_b32 v[23:24], v17, off
	v_add_co_u32 v85, s0, s22, v4
	s_delay_alu instid0(VALU_DEP_1) | instskip(SKIP_4) | instid1(VALU_DEP_4)
	v_add_co_ci_u32_e64 v86, s0, s23, v5, s0
	v_lshlrev_b64 v[4:5], 4, v[6:7]
	v_add_nc_u32_e32 v6, 6, v19
	v_lshlrev_b64 v[91:92], 4, v[21:22]
	v_add_nc_u32_e32 v19, 8, v19
	v_add_co_u32 v87, s0, s22, v4
	s_delay_alu instid0(VALU_DEP_1)
	v_add_co_ci_u32_e64 v88, s0, s23, v5, s0
	v_lshlrev_b64 v[89:90], 4, v[6:7]
	ds_load_2addr_b64 v[4:7], v50 offset1:1
	ds_load_2addr_b64 v[21:24], v51 offset1:1
	;; [unrolled: 1-line block ×9, first 2 shown]
	v_lshlrev_b64 v[93:94], 4, v[19:20]
	v_add_co_u32 v89, s0, s22, v89
	s_delay_alu instid0(VALU_DEP_1) | instskip(SKIP_1) | instid1(VALU_DEP_1)
	v_add_co_ci_u32_e64 v90, s0, s23, v90, s0
	v_add_co_u32 v91, s0, s22, v91
	v_add_co_ci_u32_e64 v92, s0, s23, v92, s0
	v_add_co_u32 v93, s0, s22, v93
	s_delay_alu instid0(VALU_DEP_1)
	v_add_co_ci_u32_e64 v94, s0, s23, v94, s0
	s_waitcnt lgkmcnt(6)
	s_clause 0x2
	global_store_b128 v[33:34], v[25:28], off
	global_store_b128 v[79:80], v[4:7], off
	;; [unrolled: 1-line block ×3, first 2 shown]
	s_waitcnt lgkmcnt(5)
	global_store_b128 v[83:84], v[29:32], off
	s_waitcnt lgkmcnt(4)
	global_store_b128 v[85:86], v[59:62], off
	;; [unrolled: 2-line block ×6, first 2 shown]
	s_branch .LBB26_10
.LBB26_39:
	s_nop 0
	s_sendmsg sendmsg(MSG_DEALLOC_VGPRS)
	s_endpgm
	.section	.rodata,"a",@progbits
	.p2align	6, 0x0
	.amdhsa_kernel _ZN9rocsparseL39bsrgeam_wf_per_row_multipass_2_3_kernelILj256ELj3ELj32E21rocsparse_complex_numIdEEEv20rocsparse_direction_iiiNS_24const_host_device_scalarIT2_EEPKiS8_PKS5_S6_S8_S8_SA_S8_PiPS5_21rocsparse_index_base_SD_SD_b
		.amdhsa_group_segment_fixed_size 41216
		.amdhsa_private_segment_fixed_size 0
		.amdhsa_kernarg_size 136
		.amdhsa_user_sgpr_count 15
		.amdhsa_user_sgpr_dispatch_ptr 1
		.amdhsa_user_sgpr_queue_ptr 0
		.amdhsa_user_sgpr_kernarg_segment_ptr 1
		.amdhsa_user_sgpr_dispatch_id 0
		.amdhsa_user_sgpr_private_segment_size 0
		.amdhsa_wavefront_size32 1
		.amdhsa_uses_dynamic_stack 0
		.amdhsa_enable_private_segment 0
		.amdhsa_system_sgpr_workgroup_id_x 1
		.amdhsa_system_sgpr_workgroup_id_y 0
		.amdhsa_system_sgpr_workgroup_id_z 0
		.amdhsa_system_sgpr_workgroup_info 0
		.amdhsa_system_vgpr_workitem_id 2
		.amdhsa_next_free_vgpr 124
		.amdhsa_next_free_sgpr 28
		.amdhsa_reserve_vcc 1
		.amdhsa_float_round_mode_32 0
		.amdhsa_float_round_mode_16_64 0
		.amdhsa_float_denorm_mode_32 3
		.amdhsa_float_denorm_mode_16_64 3
		.amdhsa_dx10_clamp 1
		.amdhsa_ieee_mode 1
		.amdhsa_fp16_overflow 0
		.amdhsa_workgroup_processor_mode 1
		.amdhsa_memory_ordered 1
		.amdhsa_forward_progress 0
		.amdhsa_shared_vgpr_count 0
		.amdhsa_exception_fp_ieee_invalid_op 0
		.amdhsa_exception_fp_denorm_src 0
		.amdhsa_exception_fp_ieee_div_zero 0
		.amdhsa_exception_fp_ieee_overflow 0
		.amdhsa_exception_fp_ieee_underflow 0
		.amdhsa_exception_fp_ieee_inexact 0
		.amdhsa_exception_int_div_zero 0
	.end_amdhsa_kernel
	.section	.text._ZN9rocsparseL39bsrgeam_wf_per_row_multipass_2_3_kernelILj256ELj3ELj32E21rocsparse_complex_numIdEEEv20rocsparse_direction_iiiNS_24const_host_device_scalarIT2_EEPKiS8_PKS5_S6_S8_S8_SA_S8_PiPS5_21rocsparse_index_base_SD_SD_b,"axG",@progbits,_ZN9rocsparseL39bsrgeam_wf_per_row_multipass_2_3_kernelILj256ELj3ELj32E21rocsparse_complex_numIdEEEv20rocsparse_direction_iiiNS_24const_host_device_scalarIT2_EEPKiS8_PKS5_S6_S8_S8_SA_S8_PiPS5_21rocsparse_index_base_SD_SD_b,comdat
.Lfunc_end26:
	.size	_ZN9rocsparseL39bsrgeam_wf_per_row_multipass_2_3_kernelILj256ELj3ELj32E21rocsparse_complex_numIdEEEv20rocsparse_direction_iiiNS_24const_host_device_scalarIT2_EEPKiS8_PKS5_S6_S8_S8_SA_S8_PiPS5_21rocsparse_index_base_SD_SD_b, .Lfunc_end26-_ZN9rocsparseL39bsrgeam_wf_per_row_multipass_2_3_kernelILj256ELj3ELj32E21rocsparse_complex_numIdEEEv20rocsparse_direction_iiiNS_24const_host_device_scalarIT2_EEPKiS8_PKS5_S6_S8_S8_SA_S8_PiPS5_21rocsparse_index_base_SD_SD_b
                                        ; -- End function
	.section	.AMDGPU.csdata,"",@progbits
; Kernel info:
; codeLenInByte = 5116
; NumSgprs: 30
; NumVgprs: 124
; ScratchSize: 0
; MemoryBound: 0
; FloatMode: 240
; IeeeMode: 1
; LDSByteSize: 41216 bytes/workgroup (compile time only)
; SGPRBlocks: 3
; VGPRBlocks: 15
; NumSGPRsForWavesPerEU: 30
; NumVGPRsForWavesPerEU: 124
; Occupancy: 6
; WaveLimiterHint : 1
; COMPUTE_PGM_RSRC2:SCRATCH_EN: 0
; COMPUTE_PGM_RSRC2:USER_SGPR: 15
; COMPUTE_PGM_RSRC2:TRAP_HANDLER: 0
; COMPUTE_PGM_RSRC2:TGID_X_EN: 1
; COMPUTE_PGM_RSRC2:TGID_Y_EN: 0
; COMPUTE_PGM_RSRC2:TGID_Z_EN: 0
; COMPUTE_PGM_RSRC2:TIDIG_COMP_CNT: 2
	.section	.text._ZN9rocsparseL39bsrgeam_wf_per_row_multipass_2_3_kernelILj256ELj3ELj64E21rocsparse_complex_numIdEEEv20rocsparse_direction_iiiNS_24const_host_device_scalarIT2_EEPKiS8_PKS5_S6_S8_S8_SA_S8_PiPS5_21rocsparse_index_base_SD_SD_b,"axG",@progbits,_ZN9rocsparseL39bsrgeam_wf_per_row_multipass_2_3_kernelILj256ELj3ELj64E21rocsparse_complex_numIdEEEv20rocsparse_direction_iiiNS_24const_host_device_scalarIT2_EEPKiS8_PKS5_S6_S8_S8_SA_S8_PiPS5_21rocsparse_index_base_SD_SD_b,comdat
	.globl	_ZN9rocsparseL39bsrgeam_wf_per_row_multipass_2_3_kernelILj256ELj3ELj64E21rocsparse_complex_numIdEEEv20rocsparse_direction_iiiNS_24const_host_device_scalarIT2_EEPKiS8_PKS5_S6_S8_S8_SA_S8_PiPS5_21rocsparse_index_base_SD_SD_b ; -- Begin function _ZN9rocsparseL39bsrgeam_wf_per_row_multipass_2_3_kernelILj256ELj3ELj64E21rocsparse_complex_numIdEEEv20rocsparse_direction_iiiNS_24const_host_device_scalarIT2_EEPKiS8_PKS5_S6_S8_S8_SA_S8_PiPS5_21rocsparse_index_base_SD_SD_b
	.p2align	8
	.type	_ZN9rocsparseL39bsrgeam_wf_per_row_multipass_2_3_kernelILj256ELj3ELj64E21rocsparse_complex_numIdEEEv20rocsparse_direction_iiiNS_24const_host_device_scalarIT2_EEPKiS8_PKS5_S6_S8_S8_SA_S8_PiPS5_21rocsparse_index_base_SD_SD_b,@function
_ZN9rocsparseL39bsrgeam_wf_per_row_multipass_2_3_kernelILj256ELj3ELj64E21rocsparse_complex_numIdEEEv20rocsparse_direction_iiiNS_24const_host_device_scalarIT2_EEPKiS8_PKS5_S6_S8_S8_SA_S8_PiPS5_21rocsparse_index_base_SD_SD_b: ; @_ZN9rocsparseL39bsrgeam_wf_per_row_multipass_2_3_kernelILj256ELj3ELj64E21rocsparse_complex_numIdEEEv20rocsparse_direction_iiiNS_24const_host_device_scalarIT2_EEPKiS8_PKS5_S6_S8_S8_SA_S8_PiPS5_21rocsparse_index_base_SD_SD_b
; %bb.0:
	s_clause 0x1
	s_load_b128 s[4:7], s[2:3], 0x78
	s_load_b128 s[16:19], s[2:3], 0x10
	s_load_b64 s[12:13], s[0:1], 0x4
	s_mov_b64 s[0:1], src_shared_base
	v_and_b32_e32 v6, 0x3ff, v0
	s_load_b128 s[8:11], s[2:3], 0x38
	v_bfe_u32 v2, v0, 10, 10
	v_bfe_u32 v0, v0, 20, 10
	s_waitcnt lgkmcnt(0)
	s_bitcmp1_b32 s7, 0
	v_mov_b32_e32 v10, s18
	s_cselect_b32 s0, -1, 0
	v_mov_b32_e32 v11, s19
	s_and_b32 vcc_lo, s0, exec_lo
	s_cselect_b32 s7, s1, s17
	s_lshr_b32 s12, s12, 16
	v_mov_b32_e32 v5, s7
	s_mul_i32 s12, s12, s13
	s_xor_b32 s7, s0, -1
	v_mul_lo_u32 v1, s12, v6
	s_delay_alu instid0(VALU_DEP_1) | instskip(SKIP_1) | instid1(VALU_DEP_2)
	v_mad_u32_u24 v1, v2, s13, v1
	v_dual_mov_b32 v2, s8 :: v_dual_mov_b32 v3, s9
	v_add_lshl_u32 v7, v1, v0, 3
	v_dual_mov_b32 v0, s16 :: v_dual_mov_b32 v1, s17
	s_delay_alu instid0(VALU_DEP_2) | instskip(SKIP_1) | instid1(VALU_DEP_2)
	v_add_nc_u32_e32 v4, 0x9900, v7
	v_add_nc_u32_e32 v8, 0x100, v7
	v_cndmask_b32_e64 v4, s16, v4, s0
	ds_store_2addr_stride64_b64 v8, v[2:3], v[0:1] offset0:72 offset1:76
	v_add_nc_u32_e32 v0, 0x9100, v7
	flat_load_b64 v[8:9], v[4:5]
	s_cbranch_vccnz .LBB27_2
; %bb.1:
	v_dual_mov_b32 v1, s16 :: v_dual_mov_b32 v2, s17
	flat_load_b64 v[10:11], v[1:2] offset:8
.LBB27_2:
	s_and_b32 s12, s0, exec_lo
	s_cselect_b32 s1, s1, s9
	v_cndmask_b32_e64 v0, s8, v0, s0
	v_mov_b32_e32 v1, s1
	v_dual_mov_b32 v15, s11 :: v_dual_mov_b32 v14, s10
	s_and_not1_b32 vcc_lo, exec_lo, s7
	flat_load_b64 v[12:13], v[0:1]
	s_cbranch_vccnz .LBB27_4
; %bb.3:
	v_dual_mov_b32 v0, s8 :: v_dual_mov_b32 v1, s9
	flat_load_b64 v[14:15], v[0:1] offset:8
.LBB27_4:
	s_load_b128 s[8:11], s[2:3], 0x0
	v_lshrrev_b32_e32 v7, 6, v6
	s_lshl_b32 s0, s15, 2
	s_delay_alu instid0(VALU_DEP_1) | instid1(SALU_CYCLE_1)
	v_and_or_b32 v0, 0x3fffffc, s0, v7
	s_mov_b32 s0, exec_lo
	s_waitcnt lgkmcnt(0)
	s_delay_alu instid0(VALU_DEP_1)
	v_cmpx_gt_i32_e64 s9, v0
	s_cbranch_execz .LBB27_39
; %bb.5:
	s_clause 0x2
	s_load_b128 s[12:15], s[2:3], 0x20
	s_load_b128 s[16:19], s[2:3], 0x48
	s_load_b64 s[0:1], s[2:3], 0x60
	v_lshlrev_b32_e32 v0, 2, v0
	s_waitcnt lgkmcnt(0)
	s_clause 0x2
	global_load_b64 v[4:5], v0, s[12:13]
	global_load_b64 v[2:3], v0, s[16:17]
	global_load_b32 v16, v0, s[0:1]
	s_waitcnt vmcnt(2)
	v_subrev_nc_u32_e32 v0, s4, v4
	v_cmp_lt_i32_e32 vcc_lo, v4, v5
	v_mov_b32_e32 v4, s10
	s_and_saveexec_b32 s0, vcc_lo
	s_cbranch_execz .LBB27_7
; %bb.6:
	v_ashrrev_i32_e32 v1, 31, v0
	s_delay_alu instid0(VALU_DEP_1) | instskip(NEXT) | instid1(VALU_DEP_1)
	v_lshlrev_b64 v[17:18], 2, v[0:1]
	v_add_co_u32 v17, vcc_lo, s14, v17
	s_delay_alu instid0(VALU_DEP_2)
	v_add_co_ci_u32_e32 v18, vcc_lo, s15, v18, vcc_lo
	global_load_b32 v1, v[17:18], off
	s_waitcnt vmcnt(0)
	v_subrev_nc_u32_e32 v4, s4, v1
.LBB27_7:
	s_or_b32 exec_lo, exec_lo, s0
	s_clause 0x2
	s_load_b128 s[20:23], s[2:3], 0x68
	s_load_b64 s[12:13], s[2:3], 0x58
	s_load_b64 s[2:3], s[2:3], 0x30
	s_waitcnt vmcnt(1)
	v_subrev_nc_u32_e32 v1, s5, v2
	v_cmp_lt_i32_e32 vcc_lo, v2, v3
	v_mov_b32_e32 v2, s10
	s_and_saveexec_b32 s0, vcc_lo
	s_cbranch_execz .LBB27_9
; %bb.8:
	v_ashrrev_i32_e32 v2, 31, v1
	s_delay_alu instid0(VALU_DEP_1) | instskip(NEXT) | instid1(VALU_DEP_1)
	v_lshlrev_b64 v[17:18], 2, v[1:2]
	v_add_co_u32 v17, vcc_lo, s18, v17
	s_delay_alu instid0(VALU_DEP_2)
	v_add_co_ci_u32_e32 v18, vcc_lo, s19, v18, vcc_lo
	global_load_b32 v2, v[17:18], off
	s_waitcnt vmcnt(0)
	v_subrev_nc_u32_e32 v2, s5, v2
.LBB27_9:
	s_or_b32 exec_lo, exec_lo, s0
	v_subrev_nc_u32_e32 v37, s4, v5
	v_subrev_nc_u32_e32 v40, s5, v3
	v_mbcnt_lo_u32_b32 v3, -1, 0
	v_and_b32_e32 v5, 63, v6
	s_waitcnt vmcnt(0)
	v_subrev_nc_u32_e32 v41, s6, v16
	s_movk_i32 s0, 0xc0
	s_mov_b32 s24, 0
	v_and_or_b32 v38, v6, s0, 0x9000
	v_add_nc_u32_e32 v16, v0, v5
	v_or_b32_e32 v0, 32, v3
	v_xor_b32_e32 v6, 16, v3
	s_mov_b32 s25, s24
	s_mov_b32 s26, s24
	;; [unrolled: 1-line block ×3, first 2 shown]
	v_cmp_gt_i32_e32 vcc_lo, 32, v0
	v_xor_b32_e32 v19, 8, v3
	v_cmp_gt_i32_e64 s0, 32, v6
	v_mul_u32_u24_e32 v7, 0x240, v7
	v_xor_b32_e32 v22, 2, v3
	v_cndmask_b32_e32 v0, v3, v0, vcc_lo
	v_add_nc_u32_e32 v18, v1, v5
	v_xor_b32_e32 v1, 63, v5
	v_cndmask_b32_e64 v6, v3, v6, s0
	v_cmp_gt_i32_e64 s0, 32, v19
	s_cmp_eq_u32 s8, 0
	v_xor_b32_e32 v23, 1, v3
	v_lshrrev_b64 v[20:21], v1, -1
	v_xor_b32_e32 v21, 4, v3
	v_cndmask_b32_e64 v19, v3, v19, s0
	s_cselect_b32 vcc_lo, -1, 0
	v_lshlrev_b32_e32 v39, 4, v7
	v_min_i32_e32 v61, v2, v4
	v_cmp_gt_i32_e64 s0, 32, v21
	v_dual_mov_b32 v59, 1 :: v_dual_lshlrev_b32 v44, 2, v0
	s_delay_alu instid0(VALU_DEP_4) | instskip(SKIP_1) | instid1(VALU_DEP_4)
	v_mad_u32_u24 v42, 0x90, v5, v39
	v_lshlrev_b32_e32 v47, 2, v6
	v_cndmask_b32_e64 v21, v3, v21, s0
	v_cmp_gt_i32_e64 s0, 32, v22
	v_lshlrev_b32_e32 v48, 2, v19
	v_add_nc_u32_e32 v0, 32, v42
	v_add_nc_u32_e32 v1, 0x50, v42
	;; [unrolled: 1-line block ×3, first 2 shown]
	v_cndmask_b32_e64 v22, v3, v22, s0
	v_cmp_gt_i32_e64 s0, 32, v23
	v_add_nc_u32_e32 v17, 0x70, v42
	s_delay_alu instid0(VALU_DEP_4) | instskip(NEXT) | instid1(VALU_DEP_4)
	v_dual_cndmask_b32 v56, v0, v7 :: v_dual_add_nc_u32 v45, 64, v42
	v_lshlrev_b32_e32 v50, 2, v22
	s_delay_alu instid0(VALU_DEP_4)
	v_cndmask_b32_e64 v3, v3, v23, s0
	v_mov_b32_e32 v22, 0
	v_dual_cndmask_b32 v55, v17, v1 :: v_dual_add_nc_u32 v2, 16, v42
	v_dual_cndmask_b32 v57, v1, v17 :: v_dual_add_nc_u32 v4, 48, v42
	v_add_nc_u32_e32 v43, s6, v5
	v_lshlrev_b32_e32 v51, 2, v3
	v_cndmask_b32_e32 v53, v7, v0, vcc_lo
	s_delay_alu instid0(VALU_DEP_4)
	v_cndmask_b32_e32 v54, v2, v4, vcc_lo
	v_cndmask_b32_e32 v52, v4, v2, vcc_lo
	v_mov_b32_e32 v0, s24
	v_add_nc_u32_e32 v46, 0x80, v42
	v_lshlrev_b32_e32 v49, 2, v21
	v_dual_mov_b32 v1, s25 :: v_dual_add_nc_u32 v58, v38, v5
	v_dual_mov_b32 v2, s26 :: v_dual_mov_b32 v3, s27
	s_cmp_lg_u32 s8, 0
	s_cselect_b32 s1, -1, 0
	s_branch .LBB27_11
.LBB27_10:                              ;   in Loop: Header=BB27_11 Depth=1
	s_or_b32 exec_lo, exec_lo, s6
	ds_bpermute_b32 v4, v44, v60
	s_bcnt1_i32_b32 s6, vcc_lo
	s_delay_alu instid0(SALU_CYCLE_1)
	v_add_nc_u32_e32 v41, s6, v41
	s_waitcnt lgkmcnt(0)
	v_min_i32_e32 v4, v4, v60
	ds_bpermute_b32 v5, v47, v4
	s_waitcnt lgkmcnt(0)
	v_min_i32_e32 v4, v5, v4
	ds_bpermute_b32 v5, v48, v4
	;; [unrolled: 3-line block ×5, first 2 shown]
	s_waitcnt lgkmcnt(0)
	v_min_i32_e32 v61, v5, v4
	s_delay_alu instid0(VALU_DEP_1) | instskip(NEXT) | instid1(VALU_DEP_1)
	v_cmp_le_i32_e64 s0, s10, v61
	s_or_b32 s24, s0, s24
	s_delay_alu instid0(SALU_CYCLE_1)
	s_and_not1_b32 exec_lo, exec_lo, s24
	s_cbranch_execz .LBB27_39
.LBB27_11:                              ; =>This Loop Header: Depth=1
                                        ;     Child Loop BB27_14 Depth 2
                                        ;     Child Loop BB27_27 Depth 2
	v_mov_b32_e32 v60, s10
	s_mov_b32 s6, exec_lo
	ds_store_b128 v42, v[0:3]
	ds_store_b128 v42, v[0:3] offset:16
	ds_store_b128 v42, v[0:3] offset:32
	;; [unrolled: 1-line block ×7, first 2 shown]
	ds_store_b8 v58, v22
	ds_store_b128 v42, v[0:3] offset:128
	s_waitcnt lgkmcnt(0)
	buffer_gl0_inv
	v_cmpx_lt_i32_e64 v16, v37
	s_cbranch_execz .LBB27_24
; %bb.12:                               ;   in Loop: Header=BB27_11 Depth=1
	v_mad_u64_u32 v[4:5], null, v16, 9, 8
	v_mov_b32_e32 v60, s10
	s_mov_b32 s7, 0
	s_branch .LBB27_14
.LBB27_13:                              ;   in Loop: Header=BB27_14 Depth=2
	s_or_b32 exec_lo, exec_lo, s9
	s_delay_alu instid0(SALU_CYCLE_1) | instskip(NEXT) | instid1(SALU_CYCLE_1)
	s_and_b32 s0, exec_lo, s8
	s_or_b32 s7, s0, s7
	s_delay_alu instid0(SALU_CYCLE_1)
	s_and_not1_b32 exec_lo, exec_lo, s7
	s_cbranch_execz .LBB27_23
.LBB27_14:                              ;   Parent Loop BB27_11 Depth=1
                                        ; =>  This Inner Loop Header: Depth=2
	v_ashrrev_i32_e32 v17, 31, v16
	s_mov_b32 s8, exec_lo
	s_delay_alu instid0(VALU_DEP_1) | instskip(NEXT) | instid1(VALU_DEP_1)
	v_lshlrev_b64 v[5:6], 2, v[16:17]
	v_add_co_u32 v5, vcc_lo, s14, v5
	s_delay_alu instid0(VALU_DEP_2) | instskip(SKIP_3) | instid1(VALU_DEP_1)
	v_add_co_ci_u32_e32 v6, vcc_lo, s15, v6, vcc_lo
	global_load_b32 v5, v[5:6], off
	s_waitcnt vmcnt(0)
	v_subrev_nc_u32_e32 v6, s4, v5
	v_sub_nc_u32_e32 v5, v6, v61
	s_delay_alu instid0(VALU_DEP_1)
	v_cmp_gt_u32_e64 s0, 64, v5
	v_cmpx_lt_u32_e32 63, v5
	s_xor_b32 s8, exec_lo, s8
; %bb.15:                               ;   in Loop: Header=BB27_14 Depth=2
	v_min_i32_e32 v60, v6, v60
                                        ; implicit-def: $vgpr5
; %bb.16:                               ;   in Loop: Header=BB27_14 Depth=2
	s_and_not1_saveexec_b32 s8, s8
	s_cbranch_execz .LBB27_21
; %bb.17:                               ;   in Loop: Header=BB27_14 Depth=2
	v_add_nc_u32_e32 v21, -8, v4
	v_add_nc_u32_e32 v31, -7, v4
	;; [unrolled: 1-line block ×4, first 2 shown]
	s_delay_alu instid0(VALU_DEP_4) | instskip(SKIP_1) | instid1(VALU_DEP_2)
	v_lshlrev_b64 v[6:7], 4, v[21:22]
	v_add_nc_u32_e32 v21, -5, v4
	v_add_co_u32 v6, vcc_lo, s2, v6
	s_delay_alu instid0(VALU_DEP_3)
	v_add_co_ci_u32_e32 v7, vcc_lo, s3, v7, vcc_lo
	s_and_not1_b32 vcc_lo, exec_lo, s1
	global_load_b128 v[23:26], v[6:7], off
	s_waitcnt vmcnt(0)
	v_mul_f64 v[6:7], v[25:26], -v[10:11]
	v_mul_f64 v[25:26], v[8:9], v[25:26]
	s_delay_alu instid0(VALU_DEP_2) | instskip(NEXT) | instid1(VALU_DEP_2)
	v_fma_f64 v[32:33], v[8:9], v[23:24], v[6:7]
	v_fma_f64 v[34:35], v[10:11], v[23:24], v[25:26]
	v_mul_lo_u32 v6, 0x90, v5
	v_add_nc_u32_e32 v5, v38, v5
	v_add_nc_u32_e32 v23, -2, v4
	v_add_nc_u32_e32 v25, -3, v4
	s_delay_alu instid0(VALU_DEP_4)
	v_add_nc_u32_e32 v17, v39, v6
	v_add_nc_u32_e32 v6, -1, v4
	ds_store_b8 v5, v59
	ds_store_b128 v17, v[32:35]
	s_cbranch_vccnz .LBB27_19
; %bb.18:                               ;   in Loop: Header=BB27_14 Depth=2
	v_mov_b32_e32 v24, v22
	v_lshlrev_b64 v[33:34], 4, v[21:22]
	v_mov_b32_e32 v32, v22
	v_mov_b32_e32 v28, v22
	;; [unrolled: 1-line block ×3, first 2 shown]
	v_lshlrev_b64 v[35:36], 4, v[23:24]
	v_mov_b32_e32 v30, v22
	v_add_co_u32 v33, vcc_lo, s2, v33
	v_lshlrev_b64 v[66:67], 4, v[31:32]
	v_add_co_ci_u32_e32 v34, vcc_lo, s3, v34, vcc_lo
	v_add_co_u32 v62, vcc_lo, s2, v35
	v_lshlrev_b64 v[68:69], 4, v[27:28]
	v_add_co_ci_u32_e32 v63, vcc_lo, s3, v36, vcc_lo
	v_add_co_u32 v66, vcc_lo, s2, v66
	v_lshlrev_b64 v[70:71], 4, v[6:7]
	v_mov_b32_e32 v26, v22
	v_add_co_ci_u32_e32 v67, vcc_lo, s3, v67, vcc_lo
	v_add_co_u32 v72, vcc_lo, s2, v68
	v_lshlrev_b64 v[78:79], 4, v[29:30]
	v_mov_b32_e32 v5, v22
	v_add_co_ci_u32_e32 v73, vcc_lo, s3, v69, vcc_lo
	v_add_co_u32 v74, vcc_lo, s2, v70
	v_lshlrev_b64 v[80:81], 4, v[25:26]
	v_add_co_ci_u32_e32 v75, vcc_lo, s3, v71, vcc_lo
	v_add_co_u32 v78, vcc_lo, s2, v78
	v_lshlrev_b64 v[82:83], 4, v[4:5]
	v_add_co_ci_u32_e32 v79, vcc_lo, s3, v79, vcc_lo
	v_add_co_u32 v84, vcc_lo, s2, v80
	s_clause 0x1
	global_load_b128 v[32:35], v[33:34], off
	global_load_b128 v[62:65], v[62:63], off
	v_add_co_ci_u32_e32 v85, vcc_lo, s3, v81, vcc_lo
	v_add_co_u32 v86, vcc_lo, s2, v82
	s_clause 0x2
	global_load_b128 v[66:69], v[66:67], off
	global_load_b128 v[70:73], v[72:73], off
	;; [unrolled: 1-line block ×3, first 2 shown]
	v_add_co_ci_u32_e32 v87, vcc_lo, s3, v83, vcc_lo
	s_clause 0x2
	global_load_b128 v[78:81], v[78:79], off
	global_load_b128 v[82:85], v[84:85], off
	;; [unrolled: 1-line block ×3, first 2 shown]
	s_waitcnt vmcnt(7)
	v_mul_f64 v[90:91], v[34:35], -v[10:11]
	v_mul_f64 v[34:35], v[8:9], v[34:35]
	s_waitcnt vmcnt(6)
	v_mul_f64 v[92:93], v[64:65], -v[10:11]
	v_mul_f64 v[64:65], v[8:9], v[64:65]
	;; [unrolled: 3-line block ×8, first 2 shown]
	v_fma_f64 v[88:89], v[8:9], v[32:33], v[90:91]
	v_fma_f64 v[90:91], v[10:11], v[32:33], v[34:35]
	;; [unrolled: 1-line block ×16, first 2 shown]
	ds_store_b128 v17, v[88:91] offset:16
	ds_store_b128 v17, v[32:35] offset:32
	;; [unrolled: 1-line block ×8, first 2 shown]
	s_cbranch_execz .LBB27_20
	s_branch .LBB27_21
.LBB27_19:                              ;   in Loop: Header=BB27_14 Depth=2
.LBB27_20:                              ;   in Loop: Header=BB27_14 Depth=2
	v_mov_b32_e32 v32, v22
	v_mov_b32_e32 v30, v22
	;; [unrolled: 1-line block ×3, first 2 shown]
	v_lshlrev_b64 v[35:36], 4, v[21:22]
	v_mov_b32_e32 v26, v22
	v_lshlrev_b64 v[31:32], 4, v[31:32]
	v_lshlrev_b64 v[29:30], 4, v[29:30]
	;; [unrolled: 1-line block ×3, first 2 shown]
	v_mov_b32_e32 v24, v22
	v_lshlrev_b64 v[25:26], 4, v[25:26]
	v_mov_b32_e32 v7, v22
	v_add_co_u32 v31, vcc_lo, s2, v31
	v_add_co_ci_u32_e32 v32, vcc_lo, s3, v32, vcc_lo
	v_add_co_u32 v33, vcc_lo, s2, v29
	v_add_co_ci_u32_e32 v34, vcc_lo, s3, v30, vcc_lo
	;; [unrolled: 2-line block ×4, first 2 shown]
	v_lshlrev_b64 v[70:71], 4, v[23:24]
	v_add_co_u32 v66, vcc_lo, s2, v25
	v_add_co_ci_u32_e32 v67, vcc_lo, s3, v26, vcc_lo
	v_mov_b32_e32 v5, v22
	v_lshlrev_b64 v[6:7], 4, v[6:7]
	s_clause 0x4
	global_load_b128 v[27:30], v[31:32], off
	global_load_b128 v[31:34], v[33:34], off
	;; [unrolled: 1-line block ×5, first 2 shown]
	v_add_co_u32 v35, vcc_lo, s2, v70
	v_add_co_ci_u32_e32 v36, vcc_lo, s3, v71, vcc_lo
	v_lshlrev_b64 v[70:71], 4, v[4:5]
	v_add_co_u32 v5, vcc_lo, s2, v6
	v_add_co_ci_u32_e32 v6, vcc_lo, s3, v7, vcc_lo
	s_delay_alu instid0(VALU_DEP_3) | instskip(NEXT) | instid1(VALU_DEP_4)
	v_add_co_u32 v78, vcc_lo, s2, v70
	v_add_co_ci_u32_e32 v79, vcc_lo, s3, v71, vcc_lo
	s_clause 0x2
	global_load_b128 v[70:73], v[35:36], off
	global_load_b128 v[74:77], v[5:6], off
	;; [unrolled: 1-line block ×3, first 2 shown]
	s_waitcnt vmcnt(7)
	v_mul_f64 v[82:83], v[29:30], -v[10:11]
	s_waitcnt vmcnt(5)
	v_mul_f64 v[5:6], v[25:26], -v[10:11]
	v_mul_f64 v[25:26], v[8:9], v[25:26]
	v_mul_f64 v[29:30], v[8:9], v[29:30]
	v_mul_f64 v[84:85], v[33:34], -v[10:11]
	v_mul_f64 v[86:87], v[8:9], v[33:34]
	s_waitcnt vmcnt(4)
	v_mul_f64 v[88:89], v[64:65], -v[10:11]
	v_mul_f64 v[64:65], v[8:9], v[64:65]
	s_waitcnt vmcnt(3)
	;; [unrolled: 3-line block ×5, first 2 shown]
	v_mul_f64 v[96:97], v[80:81], -v[10:11]
	v_mul_f64 v[98:99], v[8:9], v[80:81]
	v_fma_f64 v[33:34], v[8:9], v[23:24], v[5:6]
	v_fma_f64 v[35:36], v[10:11], v[23:24], v[25:26]
	v_fma_f64 v[23:24], v[8:9], v[27:28], v[82:83]
	v_fma_f64 v[25:26], v[10:11], v[27:28], v[29:30]
	v_fma_f64 v[27:28], v[8:9], v[31:32], v[84:85]
	v_fma_f64 v[29:30], v[10:11], v[31:32], v[86:87]
	v_fma_f64 v[80:81], v[8:9], v[62:63], v[88:89]
	v_fma_f64 v[82:83], v[10:11], v[62:63], v[64:65]
	v_fma_f64 v[62:63], v[8:9], v[66:67], v[90:91]
	v_fma_f64 v[64:65], v[10:11], v[66:67], v[68:69]
	v_fma_f64 v[66:67], v[8:9], v[70:71], v[92:93]
	v_fma_f64 v[68:69], v[10:11], v[70:71], v[72:73]
	v_fma_f64 v[70:71], v[8:9], v[74:75], v[94:95]
	v_fma_f64 v[72:73], v[10:11], v[74:75], v[76:77]
	v_fma_f64 v[74:75], v[8:9], v[78:79], v[96:97]
	v_fma_f64 v[76:77], v[10:11], v[78:79], v[98:99]
	ds_store_b128 v17, v[23:26] offset:16
	ds_store_b128 v17, v[27:30] offset:32
	ds_store_b128 v17, v[33:36] offset:48
	ds_store_b128 v17, v[80:83] offset:64
	ds_store_b128 v17, v[62:65] offset:80
	ds_store_b128 v17, v[66:69] offset:96
	ds_store_b128 v17, v[70:73] offset:112
	ds_store_b128 v17, v[74:77] offset:128
.LBB27_21:                              ;   in Loop: Header=BB27_14 Depth=2
	s_or_b32 exec_lo, exec_lo, s8
	s_mov_b32 s8, -1
	s_and_saveexec_b32 s9, s0
	s_cbranch_execz .LBB27_13
; %bb.22:                               ;   in Loop: Header=BB27_14 Depth=2
	v_add_nc_u32_e32 v16, 64, v16
	v_add_nc_u32_e32 v4, 0x240, v4
	s_delay_alu instid0(VALU_DEP_2)
	v_cmp_ge_i32_e32 vcc_lo, v16, v37
	s_or_not1_b32 s8, vcc_lo, exec_lo
	s_branch .LBB27_13
.LBB27_23:                              ;   in Loop: Header=BB27_11 Depth=1
	s_or_b32 exec_lo, exec_lo, s7
.LBB27_24:                              ;   in Loop: Header=BB27_11 Depth=1
	s_delay_alu instid0(SALU_CYCLE_1) | instskip(NEXT) | instid1(SALU_CYCLE_1)
	s_or_b32 exec_lo, exec_lo, s6
	s_mov_b32 s6, exec_lo
	s_waitcnt lgkmcnt(0)
	buffer_gl0_inv
	v_cmpx_lt_i32_e64 v18, v40
	s_cbranch_execz .LBB27_37
; %bb.25:                               ;   in Loop: Header=BB27_11 Depth=1
	v_mad_u64_u32 v[23:24], null, v18, 9, 8
	s_mov_b32 s7, 0
	s_branch .LBB27_27
.LBB27_26:                              ;   in Loop: Header=BB27_27 Depth=2
	s_or_b32 exec_lo, exec_lo, s9
	s_delay_alu instid0(SALU_CYCLE_1) | instskip(NEXT) | instid1(SALU_CYCLE_1)
	s_and_b32 s0, exec_lo, s8
	s_or_b32 s7, s0, s7
	s_delay_alu instid0(SALU_CYCLE_1)
	s_and_not1_b32 exec_lo, exec_lo, s7
	s_cbranch_execz .LBB27_36
.LBB27_27:                              ;   Parent Loop BB27_11 Depth=1
                                        ; =>  This Inner Loop Header: Depth=2
	v_ashrrev_i32_e32 v19, 31, v18
	s_mov_b32 s8, exec_lo
	s_waitcnt lgkmcnt(2)
	s_delay_alu instid0(VALU_DEP_1) | instskip(NEXT) | instid1(VALU_DEP_1)
	v_lshlrev_b64 v[4:5], 2, v[18:19]
	v_add_co_u32 v4, vcc_lo, s18, v4
	s_delay_alu instid0(VALU_DEP_2) | instskip(SKIP_3) | instid1(VALU_DEP_1)
	v_add_co_ci_u32_e32 v5, vcc_lo, s19, v5, vcc_lo
	global_load_b32 v4, v[4:5], off
	s_waitcnt vmcnt(0)
	v_subrev_nc_u32_e32 v4, s5, v4
	v_sub_nc_u32_e32 v19, v4, v61
	s_delay_alu instid0(VALU_DEP_1)
	v_cmp_gt_u32_e64 s0, 64, v19
	v_cmpx_lt_u32_e32 63, v19
	s_xor_b32 s8, exec_lo, s8
; %bb.28:                               ;   in Loop: Header=BB27_27 Depth=2
	v_min_i32_e32 v60, v4, v60
                                        ; implicit-def: $vgpr19
; %bb.29:                               ;   in Loop: Header=BB27_27 Depth=2
	s_and_not1_saveexec_b32 s8, s8
	s_cbranch_execz .LBB27_34
; %bb.30:                               ;   in Loop: Header=BB27_27 Depth=2
	v_add_nc_u32_e32 v21, -8, v23
	v_add_nc_u32_e32 v35, -7, v23
	v_add_nc_u32_e32 v33, -6, v23
	s_delay_alu instid0(VALU_DEP_3) | instskip(SKIP_1) | instid1(VALU_DEP_2)
	v_lshlrev_b64 v[4:5], 4, v[21:22]
	v_add_nc_u32_e32 v21, -5, v23
	v_add_co_u32 v4, vcc_lo, s12, v4
	s_delay_alu instid0(VALU_DEP_3) | instskip(SKIP_4) | instid1(VALU_DEP_2)
	v_add_co_ci_u32_e32 v5, vcc_lo, s13, v5, vcc_lo
	s_and_not1_b32 vcc_lo, exec_lo, s1
	global_load_b128 v[24:27], v[4:5], off
	v_mul_lo_u32 v4, 0x90, v19
	v_add_nc_u32_e32 v19, v38, v19
	v_add_nc_u32_e32 v17, v39, v4
	ds_load_b128 v[28:31], v17
	ds_load_b128 v[4:7], v17 offset:16
	s_waitcnt vmcnt(0) lgkmcnt(1)
	v_fma_f64 v[28:29], v[12:13], v[24:25], v[28:29]
	v_fma_f64 v[24:25], v[14:15], v[24:25], v[30:31]
	v_add_nc_u32_e32 v31, -4, v23
	s_delay_alu instid0(VALU_DEP_3) | instskip(NEXT) | instid1(VALU_DEP_3)
	v_fma_f64 v[62:63], -v[14:15], v[26:27], v[28:29]
	v_fma_f64 v[64:65], v[12:13], v[26:27], v[24:25]
	v_add_nc_u32_e32 v27, -2, v23
	v_add_nc_u32_e32 v25, -1, v23
	;; [unrolled: 1-line block ×3, first 2 shown]
	ds_store_b8 v19, v59
	ds_store_b128 v17, v[62:65]
	s_cbranch_vccnz .LBB27_32
; %bb.31:                               ;   in Loop: Header=BB27_27 Depth=2
	v_mov_b32_e32 v28, v22
	v_lshlrev_b64 v[62:63], 4, v[21:22]
	v_mov_b32_e32 v36, v22
	v_mov_b32_e32 v32, v22
	;; [unrolled: 1-line block ×3, first 2 shown]
	v_lshlrev_b64 v[64:65], 4, v[27:28]
	v_mov_b32_e32 v34, v22
	v_add_co_u32 v62, vcc_lo, s12, v62
	v_lshlrev_b64 v[70:71], 4, v[35:36]
	v_add_co_ci_u32_e32 v63, vcc_lo, s13, v63, vcc_lo
	v_add_co_u32 v66, vcc_lo, s12, v64
	v_lshlrev_b64 v[72:73], 4, v[31:32]
	v_add_co_ci_u32_e32 v67, vcc_lo, s13, v65, vcc_lo
	v_add_co_u32 v70, vcc_lo, s12, v70
	v_lshlrev_b64 v[74:75], 4, v[25:26]
	v_mov_b32_e32 v30, v22
	v_add_co_ci_u32_e32 v71, vcc_lo, s13, v71, vcc_lo
	v_add_co_u32 v76, vcc_lo, s12, v72
	v_lshlrev_b64 v[82:83], 4, v[33:34]
	v_mov_b32_e32 v24, v22
	v_add_co_ci_u32_e32 v77, vcc_lo, s13, v73, vcc_lo
	v_add_co_u32 v78, vcc_lo, s12, v74
	v_lshlrev_b64 v[84:85], 4, v[29:30]
	v_add_co_ci_u32_e32 v79, vcc_lo, s13, v75, vcc_lo
	v_add_co_u32 v82, vcc_lo, s12, v82
	v_lshlrev_b64 v[86:87], 4, v[23:24]
	v_add_co_ci_u32_e32 v83, vcc_lo, s13, v83, vcc_lo
	v_add_co_u32 v88, vcc_lo, s12, v84
	s_clause 0x1
	global_load_b128 v[62:65], v[62:63], off
	global_load_b128 v[66:69], v[66:67], off
	v_add_co_ci_u32_e32 v89, vcc_lo, s13, v85, vcc_lo
	v_add_co_u32 v90, vcc_lo, s12, v86
	s_clause 0x2
	global_load_b128 v[70:73], v[70:71], off
	global_load_b128 v[74:77], v[76:77], off
	;; [unrolled: 1-line block ×3, first 2 shown]
	v_add_co_ci_u32_e32 v91, vcc_lo, s13, v87, vcc_lo
	s_clause 0x2
	global_load_b128 v[82:85], v[82:83], off
	global_load_b128 v[86:89], v[88:89], off
	;; [unrolled: 1-line block ×3, first 2 shown]
	ds_load_b128 v[94:97], v17 offset:32
	ds_load_b128 v[98:101], v17 offset:48
	;; [unrolled: 1-line block ×7, first 2 shown]
	s_waitcnt vmcnt(7) lgkmcnt(9)
	v_fma_f64 v[122:123], v[12:13], v[62:63], v[4:5]
	v_fma_f64 v[124:125], v[14:15], v[62:63], v[6:7]
	s_waitcnt vmcnt(6) lgkmcnt(6)
	v_fma_f64 v[94:95], v[12:13], v[66:67], v[94:95]
	v_fma_f64 v[96:97], v[14:15], v[66:67], v[96:97]
	;; [unrolled: 3-line block ×8, first 2 shown]
	v_fma_f64 v[62:63], -v[14:15], v[64:65], v[122:123]
	v_fma_f64 v[64:65], v[12:13], v[64:65], v[124:125]
	v_fma_f64 v[66:67], -v[14:15], v[68:69], v[94:95]
	v_fma_f64 v[68:69], v[12:13], v[68:69], v[96:97]
	;; [unrolled: 2-line block ×8, first 2 shown]
	ds_store_b128 v17, v[62:65] offset:16
	ds_store_b128 v17, v[66:69] offset:32
	;; [unrolled: 1-line block ×8, first 2 shown]
	s_cbranch_execz .LBB27_33
	s_branch .LBB27_34
.LBB27_32:                              ;   in Loop: Header=BB27_27 Depth=2
.LBB27_33:                              ;   in Loop: Header=BB27_27 Depth=2
	v_mov_b32_e32 v36, v22
	v_mov_b32_e32 v34, v22
	;; [unrolled: 1-line block ×3, first 2 shown]
	v_lshlrev_b64 v[66:67], 4, v[21:22]
	v_mov_b32_e32 v30, v22
	v_lshlrev_b64 v[35:36], 4, v[35:36]
	v_lshlrev_b64 v[33:34], 4, v[33:34]
	;; [unrolled: 1-line block ×3, first 2 shown]
	v_mov_b32_e32 v28, v22
	v_lshlrev_b64 v[29:30], 4, v[29:30]
	v_mov_b32_e32 v26, v22
	v_add_co_u32 v35, vcc_lo, s12, v35
	v_add_co_ci_u32_e32 v36, vcc_lo, s13, v36, vcc_lo
	v_add_co_u32 v62, vcc_lo, s12, v33
	v_add_co_ci_u32_e32 v63, vcc_lo, s13, v34, vcc_lo
	v_lshlrev_b64 v[74:75], 4, v[27:28]
	s_clause 0x1
	global_load_b128 v[31:34], v[35:36], off
	global_load_b128 v[62:65], v[62:63], off
	v_add_co_u32 v35, vcc_lo, s12, v66
	v_add_co_ci_u32_e32 v36, vcc_lo, s13, v67, vcc_lo
	v_add_co_u32 v66, vcc_lo, s12, v68
	v_add_co_ci_u32_e32 v67, vcc_lo, s13, v69, vcc_lo
	;; [unrolled: 2-line block ×3, first 2 shown]
	v_mov_b32_e32 v24, v22
	v_lshlrev_b64 v[25:26], 4, v[25:26]
	s_clause 0x2
	global_load_b128 v[27:30], v[35:36], off
	global_load_b128 v[66:69], v[66:67], off
	;; [unrolled: 1-line block ×3, first 2 shown]
	v_add_co_u32 v35, vcc_lo, s12, v74
	v_add_co_ci_u32_e32 v36, vcc_lo, s13, v75, vcc_lo
	v_lshlrev_b64 v[74:75], 4, v[23:24]
	v_add_co_u32 v24, vcc_lo, s12, v25
	v_add_co_ci_u32_e32 v25, vcc_lo, s13, v26, vcc_lo
	s_delay_alu instid0(VALU_DEP_3) | instskip(NEXT) | instid1(VALU_DEP_4)
	v_add_co_u32 v82, vcc_lo, s12, v74
	v_add_co_ci_u32_e32 v83, vcc_lo, s13, v75, vcc_lo
	s_clause 0x2
	global_load_b128 v[74:77], v[35:36], off
	global_load_b128 v[78:81], v[24:25], off
	;; [unrolled: 1-line block ×3, first 2 shown]
	ds_load_b128 v[86:89], v17 offset:48
	ds_load_b128 v[90:93], v17 offset:32
	ds_load_b128 v[94:97], v17 offset:64
	ds_load_b128 v[98:101], v17 offset:80
	ds_load_b128 v[102:105], v17 offset:96
	ds_load_b128 v[106:109], v17 offset:112
	ds_load_b128 v[110:113], v17 offset:128
	s_waitcnt vmcnt(7) lgkmcnt(9)
	v_fma_f64 v[35:36], v[12:13], v[31:32], v[4:5]
	v_fma_f64 v[31:32], v[14:15], v[31:32], v[6:7]
	s_waitcnt vmcnt(5) lgkmcnt(6)
	v_fma_f64 v[24:25], v[12:13], v[27:28], v[86:87]
	v_fma_f64 v[26:27], v[14:15], v[27:28], v[88:89]
	s_waitcnt lgkmcnt(5)
	v_fma_f64 v[86:87], v[12:13], v[62:63], v[90:91]
	v_fma_f64 v[62:63], v[14:15], v[62:63], v[92:93]
	s_waitcnt vmcnt(4) lgkmcnt(4)
	v_fma_f64 v[88:89], v[12:13], v[66:67], v[94:95]
	v_fma_f64 v[66:67], v[14:15], v[66:67], v[96:97]
	s_waitcnt vmcnt(3) lgkmcnt(3)
	;; [unrolled: 3-line block ×5, first 2 shown]
	v_fma_f64 v[96:97], v[12:13], v[82:83], v[110:111]
	v_fma_f64 v[82:83], v[14:15], v[82:83], v[112:113]
	v_fma_f64 v[4:5], -v[14:15], v[29:30], v[24:25]
	v_fma_f64 v[6:7], v[12:13], v[29:30], v[26:27]
	v_fma_f64 v[24:25], -v[14:15], v[33:34], v[35:36]
	;; [unrolled: 2-line block ×8, first 2 shown]
	v_fma_f64 v[76:77], v[12:13], v[84:85], v[82:83]
	ds_store_b128 v17, v[24:27] offset:16
	ds_store_b128 v17, v[28:31] offset:32
	;; [unrolled: 1-line block ×8, first 2 shown]
.LBB27_34:                              ;   in Loop: Header=BB27_27 Depth=2
	s_or_b32 exec_lo, exec_lo, s8
	s_mov_b32 s8, -1
	s_and_saveexec_b32 s9, s0
	s_cbranch_execz .LBB27_26
; %bb.35:                               ;   in Loop: Header=BB27_27 Depth=2
	v_add_nc_u32_e32 v18, 64, v18
	v_add_nc_u32_e32 v23, 0x240, v23
	s_delay_alu instid0(VALU_DEP_2)
	v_cmp_ge_i32_e32 vcc_lo, v18, v40
	s_or_not1_b32 s8, vcc_lo, exec_lo
	s_branch .LBB27_26
.LBB27_36:                              ;   in Loop: Header=BB27_11 Depth=1
	s_or_b32 exec_lo, exec_lo, s7
.LBB27_37:                              ;   in Loop: Header=BB27_11 Depth=1
	s_delay_alu instid0(SALU_CYCLE_1)
	s_or_b32 exec_lo, exec_lo, s6
	s_waitcnt lgkmcnt(0)
	buffer_gl0_inv
	ds_load_u8 v4, v58
	s_mov_b32 s6, exec_lo
	s_waitcnt lgkmcnt(0)
	v_and_b32_e32 v5, 1, v4
	v_cmp_ne_u16_e32 vcc_lo, 0, v4
	s_delay_alu instid0(VALU_DEP_2)
	v_cmpx_eq_u32_e32 1, v5
	s_cbranch_execz .LBB27_10
; %bb.38:                               ;   in Loop: Header=BB27_11 Depth=1
	v_and_b32_e32 v4, vcc_lo, v20
	v_dual_mov_b32 v6, v22 :: v_dual_add_nc_u32 v17, v43, v61
	s_delay_alu instid0(VALU_DEP_2) | instskip(NEXT) | instid1(VALU_DEP_1)
	v_bcnt_u32_b32 v4, v4, 0
	v_add3_u32 v4, v41, v4, -1
	s_delay_alu instid0(VALU_DEP_1)
	v_ashrrev_i32_e32 v5, 31, v4
	v_lshl_add_u32 v21, v4, 3, v4
	v_mov_b32_e32 v24, v22
	v_mov_b32_e32 v26, v22
	;; [unrolled: 1-line block ×3, first 2 shown]
	v_lshlrev_b64 v[29:30], 2, v[4:5]
	v_add_nc_u32_e32 v25, 3, v21
	v_add_nc_u32_e32 v5, 1, v21
	;; [unrolled: 1-line block ×3, first 2 shown]
	v_lshlrev_b64 v[31:32], 4, v[21:22]
	v_add_nc_u32_e32 v27, 4, v21
	s_delay_alu instid0(VALU_DEP_4) | instskip(NEXT) | instid1(VALU_DEP_4)
	v_lshlrev_b64 v[4:5], 4, v[5:6]
	v_lshlrev_b64 v[6:7], 4, v[23:24]
	;; [unrolled: 1-line block ×3, first 2 shown]
	v_add_co_u32 v25, s0, s20, v29
	s_delay_alu instid0(VALU_DEP_1) | instskip(SKIP_1) | instid1(VALU_DEP_1)
	v_add_co_ci_u32_e64 v26, s0, s21, v30, s0
	v_add_co_u32 v35, s0, s22, v31
	v_add_co_ci_u32_e64 v36, s0, s23, v32, s0
	v_add_co_u32 v81, s0, s22, v4
	s_delay_alu instid0(VALU_DEP_1) | instskip(SKIP_1) | instid1(VALU_DEP_1)
	v_add_co_ci_u32_e64 v82, s0, s23, v5, s0
	v_add_co_u32 v83, s0, s22, v6
	v_add_co_ci_u32_e64 v84, s0, s23, v7, s0
	v_add_co_u32 v85, s0, s22, v23
	s_delay_alu instid0(VALU_DEP_1)
	v_add_co_ci_u32_e64 v86, s0, s23, v24, s0
	v_mov_b32_e32 v24, v22
	v_lshlrev_b64 v[4:5], 4, v[27:28]
	v_dual_mov_b32 v7, v22 :: v_dual_add_nc_u32 v6, 5, v21
	v_add_nc_u32_e32 v23, 7, v21
	global_store_b32 v[25:26], v17, off
	v_add_co_u32 v87, s0, s22, v4
	s_delay_alu instid0(VALU_DEP_1) | instskip(SKIP_4) | instid1(VALU_DEP_4)
	v_add_co_ci_u32_e64 v88, s0, s23, v5, s0
	v_lshlrev_b64 v[4:5], 4, v[6:7]
	v_add_nc_u32_e32 v6, 6, v21
	v_lshlrev_b64 v[93:94], 4, v[23:24]
	v_add_nc_u32_e32 v21, 8, v21
	v_add_co_u32 v89, s0, s22, v4
	s_delay_alu instid0(VALU_DEP_1)
	v_add_co_ci_u32_e64 v90, s0, s23, v5, s0
	v_lshlrev_b64 v[91:92], 4, v[6:7]
	ds_load_2addr_b64 v[4:7], v52 offset1:1
	ds_load_2addr_b64 v[23:26], v53 offset1:1
	;; [unrolled: 1-line block ×9, first 2 shown]
	v_lshlrev_b64 v[95:96], 4, v[21:22]
	v_add_co_u32 v91, s0, s22, v91
	s_delay_alu instid0(VALU_DEP_1) | instskip(SKIP_1) | instid1(VALU_DEP_1)
	v_add_co_ci_u32_e64 v92, s0, s23, v92, s0
	v_add_co_u32 v93, s0, s22, v93
	v_add_co_ci_u32_e64 v94, s0, s23, v94, s0
	v_add_co_u32 v95, s0, s22, v95
	s_delay_alu instid0(VALU_DEP_1)
	v_add_co_ci_u32_e64 v96, s0, s23, v96, s0
	s_waitcnt lgkmcnt(6)
	s_clause 0x2
	global_store_b128 v[35:36], v[27:30], off
	global_store_b128 v[81:82], v[4:7], off
	;; [unrolled: 1-line block ×3, first 2 shown]
	s_waitcnt lgkmcnt(5)
	global_store_b128 v[85:86], v[31:34], off
	s_waitcnt lgkmcnt(4)
	global_store_b128 v[87:88], v[61:64], off
	;; [unrolled: 2-line block ×6, first 2 shown]
	s_branch .LBB27_10
.LBB27_39:
	s_nop 0
	s_sendmsg sendmsg(MSG_DEALLOC_VGPRS)
	s_endpgm
	.section	.rodata,"a",@progbits
	.p2align	6, 0x0
	.amdhsa_kernel _ZN9rocsparseL39bsrgeam_wf_per_row_multipass_2_3_kernelILj256ELj3ELj64E21rocsparse_complex_numIdEEEv20rocsparse_direction_iiiNS_24const_host_device_scalarIT2_EEPKiS8_PKS5_S6_S8_S8_SA_S8_PiPS5_21rocsparse_index_base_SD_SD_b
		.amdhsa_group_segment_fixed_size 41216
		.amdhsa_private_segment_fixed_size 0
		.amdhsa_kernarg_size 136
		.amdhsa_user_sgpr_count 15
		.amdhsa_user_sgpr_dispatch_ptr 1
		.amdhsa_user_sgpr_queue_ptr 0
		.amdhsa_user_sgpr_kernarg_segment_ptr 1
		.amdhsa_user_sgpr_dispatch_id 0
		.amdhsa_user_sgpr_private_segment_size 0
		.amdhsa_wavefront_size32 1
		.amdhsa_uses_dynamic_stack 0
		.amdhsa_enable_private_segment 0
		.amdhsa_system_sgpr_workgroup_id_x 1
		.amdhsa_system_sgpr_workgroup_id_y 0
		.amdhsa_system_sgpr_workgroup_id_z 0
		.amdhsa_system_sgpr_workgroup_info 0
		.amdhsa_system_vgpr_workitem_id 2
		.amdhsa_next_free_vgpr 126
		.amdhsa_next_free_sgpr 28
		.amdhsa_reserve_vcc 1
		.amdhsa_float_round_mode_32 0
		.amdhsa_float_round_mode_16_64 0
		.amdhsa_float_denorm_mode_32 3
		.amdhsa_float_denorm_mode_16_64 3
		.amdhsa_dx10_clamp 1
		.amdhsa_ieee_mode 1
		.amdhsa_fp16_overflow 0
		.amdhsa_workgroup_processor_mode 1
		.amdhsa_memory_ordered 1
		.amdhsa_forward_progress 0
		.amdhsa_shared_vgpr_count 0
		.amdhsa_exception_fp_ieee_invalid_op 0
		.amdhsa_exception_fp_denorm_src 0
		.amdhsa_exception_fp_ieee_div_zero 0
		.amdhsa_exception_fp_ieee_overflow 0
		.amdhsa_exception_fp_ieee_underflow 0
		.amdhsa_exception_fp_ieee_inexact 0
		.amdhsa_exception_int_div_zero 0
	.end_amdhsa_kernel
	.section	.text._ZN9rocsparseL39bsrgeam_wf_per_row_multipass_2_3_kernelILj256ELj3ELj64E21rocsparse_complex_numIdEEEv20rocsparse_direction_iiiNS_24const_host_device_scalarIT2_EEPKiS8_PKS5_S6_S8_S8_SA_S8_PiPS5_21rocsparse_index_base_SD_SD_b,"axG",@progbits,_ZN9rocsparseL39bsrgeam_wf_per_row_multipass_2_3_kernelILj256ELj3ELj64E21rocsparse_complex_numIdEEEv20rocsparse_direction_iiiNS_24const_host_device_scalarIT2_EEPKiS8_PKS5_S6_S8_S8_SA_S8_PiPS5_21rocsparse_index_base_SD_SD_b,comdat
.Lfunc_end27:
	.size	_ZN9rocsparseL39bsrgeam_wf_per_row_multipass_2_3_kernelILj256ELj3ELj64E21rocsparse_complex_numIdEEEv20rocsparse_direction_iiiNS_24const_host_device_scalarIT2_EEPKiS8_PKS5_S6_S8_S8_SA_S8_PiPS5_21rocsparse_index_base_SD_SD_b, .Lfunc_end27-_ZN9rocsparseL39bsrgeam_wf_per_row_multipass_2_3_kernelILj256ELj3ELj64E21rocsparse_complex_numIdEEEv20rocsparse_direction_iiiNS_24const_host_device_scalarIT2_EEPKiS8_PKS5_S6_S8_S8_SA_S8_PiPS5_21rocsparse_index_base_SD_SD_b
                                        ; -- End function
	.section	.AMDGPU.csdata,"",@progbits
; Kernel info:
; codeLenInByte = 5168
; NumSgprs: 30
; NumVgprs: 126
; ScratchSize: 0
; MemoryBound: 0
; FloatMode: 240
; IeeeMode: 1
; LDSByteSize: 41216 bytes/workgroup (compile time only)
; SGPRBlocks: 3
; VGPRBlocks: 15
; NumSGPRsForWavesPerEU: 30
; NumVGPRsForWavesPerEU: 126
; Occupancy: 6
; WaveLimiterHint : 1
; COMPUTE_PGM_RSRC2:SCRATCH_EN: 0
; COMPUTE_PGM_RSRC2:USER_SGPR: 15
; COMPUTE_PGM_RSRC2:TRAP_HANDLER: 0
; COMPUTE_PGM_RSRC2:TGID_X_EN: 1
; COMPUTE_PGM_RSRC2:TGID_Y_EN: 0
; COMPUTE_PGM_RSRC2:TGID_Z_EN: 0
; COMPUTE_PGM_RSRC2:TIDIG_COMP_CNT: 2
	.section	.text._ZN9rocsparseL35bsrgeam_wf_per_row_multipass_kernelILj64ELj4E21rocsparse_complex_numIdEEEv20rocsparse_direction_iiiNS_24const_host_device_scalarIT1_EEPKiS8_PKS5_S6_S8_S8_SA_S8_PiPS5_21rocsparse_index_base_SD_SD_b,"axG",@progbits,_ZN9rocsparseL35bsrgeam_wf_per_row_multipass_kernelILj64ELj4E21rocsparse_complex_numIdEEEv20rocsparse_direction_iiiNS_24const_host_device_scalarIT1_EEPKiS8_PKS5_S6_S8_S8_SA_S8_PiPS5_21rocsparse_index_base_SD_SD_b,comdat
	.globl	_ZN9rocsparseL35bsrgeam_wf_per_row_multipass_kernelILj64ELj4E21rocsparse_complex_numIdEEEv20rocsparse_direction_iiiNS_24const_host_device_scalarIT1_EEPKiS8_PKS5_S6_S8_S8_SA_S8_PiPS5_21rocsparse_index_base_SD_SD_b ; -- Begin function _ZN9rocsparseL35bsrgeam_wf_per_row_multipass_kernelILj64ELj4E21rocsparse_complex_numIdEEEv20rocsparse_direction_iiiNS_24const_host_device_scalarIT1_EEPKiS8_PKS5_S6_S8_S8_SA_S8_PiPS5_21rocsparse_index_base_SD_SD_b
	.p2align	8
	.type	_ZN9rocsparseL35bsrgeam_wf_per_row_multipass_kernelILj64ELj4E21rocsparse_complex_numIdEEEv20rocsparse_direction_iiiNS_24const_host_device_scalarIT1_EEPKiS8_PKS5_S6_S8_S8_SA_S8_PiPS5_21rocsparse_index_base_SD_SD_b,@function
_ZN9rocsparseL35bsrgeam_wf_per_row_multipass_kernelILj64ELj4E21rocsparse_complex_numIdEEEv20rocsparse_direction_iiiNS_24const_host_device_scalarIT1_EEPKiS8_PKS5_S6_S8_S8_SA_S8_PiPS5_21rocsparse_index_base_SD_SD_b: ; @_ZN9rocsparseL35bsrgeam_wf_per_row_multipass_kernelILj64ELj4E21rocsparse_complex_numIdEEEv20rocsparse_direction_iiiNS_24const_host_device_scalarIT1_EEPKiS8_PKS5_S6_S8_S8_SA_S8_PiPS5_21rocsparse_index_base_SD_SD_b
; %bb.0:
	s_load_b128 s[4:7], s[2:3], 0x78
	s_load_b64 s[12:13], s[0:1], 0x4
	s_load_b128 s[16:19], s[2:3], 0x10
	v_bfe_u32 v1, v0, 10, 10
	s_mov_b64 s[0:1], src_shared_base
	s_load_b128 s[8:11], s[2:3], 0x38
	v_and_b32_e32 v2, 0x3ff, v0
	v_bfe_u32 v0, v0, 20, 10
	s_waitcnt lgkmcnt(0)
	s_bitcmp1_b32 s7, 0
	v_mul_u32_u24_e32 v1, s13, v1
	s_cselect_b32 s0, -1, 0
	s_delay_alu instid0(SALU_CYCLE_1)
	s_and_b32 vcc_lo, s0, exec_lo
	s_cselect_b32 s7, s1, s17
	s_lshr_b32 s12, s12, 16
	v_dual_mov_b32 v3, s8 :: v_dual_mov_b32 v4, s9
	s_mul_i32 s12, s12, s13
	v_mov_b32_e32 v6, s7
	v_mad_u32_u24 v1, s12, v2, v1
	s_xor_b32 s7, s0, -1
	s_delay_alu instid0(VALU_DEP_1) | instskip(SKIP_1) | instid1(VALU_DEP_2)
	v_add_lshl_u32 v7, v1, v0, 3
	v_dual_mov_b32 v0, s16 :: v_dual_mov_b32 v1, s17
	v_add_nc_u32_e32 v5, 0x620, v7
	ds_store_2addr_b64 v7, v[3:4], v[0:1] offset0:132 offset1:196
	v_add_nc_u32_e32 v0, 0x420, v7
	v_cndmask_b32_e64 v5, s16, v5, s0
	flat_load_b64 v[4:5], v[5:6]
	v_dual_mov_b32 v6, s18 :: v_dual_mov_b32 v7, s19
	s_cbranch_vccnz .LBB28_2
; %bb.1:
	v_dual_mov_b32 v6, s16 :: v_dual_mov_b32 v7, s17
	flat_load_b64 v[6:7], v[6:7] offset:8
.LBB28_2:
	s_and_b32 s12, s0, exec_lo
	s_cselect_b32 s1, s1, s9
	v_cndmask_b32_e64 v0, s8, v0, s0
	v_dual_mov_b32 v1, s1 :: v_dual_mov_b32 v10, s10
	s_load_b64 s[12:13], s[2:3], 0x20
	v_mov_b32_e32 v11, s11
	s_and_not1_b32 vcc_lo, exec_lo, s7
	flat_load_b64 v[8:9], v[0:1]
	s_cbranch_vccnz .LBB28_4
; %bb.3:
	v_dual_mov_b32 v0, s8 :: v_dual_mov_b32 v1, s9
	flat_load_b64 v[10:11], v[0:1] offset:8
.LBB28_4:
	s_load_b128 s[8:11], s[2:3], 0x0
	v_lshrrev_b32_e32 v3, 4, v2
	v_mov_b32_e32 v26, 0
	v_mov_b32_e32 v12, 0
	s_delay_alu instid0(VALU_DEP_3) | instskip(NEXT) | instid1(VALU_DEP_1)
	v_lshl_or_b32 v0, s15, 2, v3
	v_ashrrev_i32_e32 v1, 31, v0
	s_waitcnt lgkmcnt(0)
	v_cmp_le_i32_e32 vcc_lo, s9, v0
	v_cmp_gt_i32_e64 s0, s9, v0
	s_delay_alu instid0(VALU_DEP_1)
	s_and_saveexec_b32 s7, s0
	s_cbranch_execz .LBB28_6
; %bb.5:
	v_lshlrev_b64 v[12:13], 2, v[0:1]
	s_delay_alu instid0(VALU_DEP_1) | instskip(NEXT) | instid1(VALU_DEP_1)
	v_add_co_u32 v12, s1, s12, v12
	v_add_co_ci_u32_e64 v13, s1, s13, v13, s1
	global_load_b32 v12, v[12:13], off
	s_waitcnt vmcnt(0)
	v_subrev_nc_u32_e32 v12, s4, v12
.LBB28_6:
	s_or_b32 exec_lo, exec_lo, s7
	s_load_b64 s[14:15], s[2:3], 0x48
	s_and_saveexec_b32 s7, s0
	s_cbranch_execz .LBB28_8
; %bb.7:
	v_lshlrev_b64 v[13:14], 2, v[0:1]
	s_delay_alu instid0(VALU_DEP_1) | instskip(NEXT) | instid1(VALU_DEP_1)
	v_add_co_u32 v13, s1, s12, v13
	v_add_co_ci_u32_e64 v14, s1, s13, v14, s1
	global_load_b32 v13, v[13:14], off offset:4
	s_waitcnt vmcnt(0)
	v_subrev_nc_u32_e32 v26, s4, v13
.LBB28_8:
	s_or_b32 exec_lo, exec_lo, s7
	v_dual_mov_b32 v27, 0 :: v_dual_mov_b32 v14, 0
	s_and_saveexec_b32 s7, s0
	s_cbranch_execz .LBB28_10
; %bb.9:
	v_lshlrev_b64 v[13:14], 2, v[0:1]
	s_waitcnt lgkmcnt(0)
	s_delay_alu instid0(VALU_DEP_1) | instskip(NEXT) | instid1(VALU_DEP_1)
	v_add_co_u32 v13, s1, s14, v13
	v_add_co_ci_u32_e64 v14, s1, s15, v14, s1
	global_load_b32 v13, v[13:14], off
	s_waitcnt vmcnt(0)
	v_subrev_nc_u32_e32 v14, s5, v13
.LBB28_10:
	s_or_b32 exec_lo, exec_lo, s7
	s_and_saveexec_b32 s7, s0
	s_cbranch_execz .LBB28_12
; %bb.11:
	v_lshlrev_b64 v[15:16], 2, v[0:1]
	s_waitcnt lgkmcnt(0)
	s_delay_alu instid0(VALU_DEP_1) | instskip(NEXT) | instid1(VALU_DEP_1)
	v_add_co_u32 v15, s1, s14, v15
	v_add_co_ci_u32_e64 v16, s1, s15, v16, s1
	global_load_b32 v13, v[15:16], off offset:4
	s_waitcnt vmcnt(0)
	v_subrev_nc_u32_e32 v27, s5, v13
.LBB28_12:
	s_or_b32 exec_lo, exec_lo, s7
	s_load_b64 s[16:17], s[2:3], 0x28
	v_mov_b32_e32 v16, 0
	s_and_saveexec_b32 s1, s0
	s_cbranch_execz .LBB28_14
; %bb.13:
	s_load_b64 s[12:13], s[2:3], 0x60
	v_lshlrev_b64 v[0:1], 2, v[0:1]
	s_waitcnt lgkmcnt(0)
	s_delay_alu instid0(VALU_DEP_1) | instskip(NEXT) | instid1(VALU_DEP_1)
	v_add_co_u32 v0, s0, s12, v0
	v_add_co_ci_u32_e64 v1, s0, s13, v1, s0
	global_load_b32 v0, v[0:1], off
	s_waitcnt vmcnt(0)
	v_subrev_nc_u32_e32 v16, s6, v0
.LBB28_14:
	s_or_b32 exec_lo, exec_lo, s1
	s_load_b64 s[18:19], s[2:3], 0x50
	v_mov_b32_e32 v1, s10
	s_mov_b32 s1, exec_lo
	v_cmpx_lt_i32_e64 v12, v26
	s_cbranch_execz .LBB28_16
; %bb.15:
	v_ashrrev_i32_e32 v13, 31, v12
	s_delay_alu instid0(VALU_DEP_1) | instskip(SKIP_1) | instid1(VALU_DEP_1)
	v_lshlrev_b64 v[0:1], 2, v[12:13]
	s_waitcnt lgkmcnt(0)
	v_add_co_u32 v0, s0, s16, v0
	s_delay_alu instid0(VALU_DEP_1)
	v_add_co_ci_u32_e64 v1, s0, s17, v1, s0
	global_load_b32 v0, v[0:1], off
	s_waitcnt vmcnt(0)
	v_subrev_nc_u32_e32 v1, s4, v0
.LBB28_16:
	s_or_b32 exec_lo, exec_lo, s1
	v_mov_b32_e32 v13, s10
	s_mov_b32 s1, exec_lo
	v_cmpx_lt_i32_e64 v14, v27
	s_cbranch_execz .LBB28_18
; %bb.17:
	v_ashrrev_i32_e32 v15, 31, v14
	s_delay_alu instid0(VALU_DEP_1) | instskip(SKIP_1) | instid1(VALU_DEP_1)
	v_lshlrev_b64 v[17:18], 2, v[14:15]
	s_waitcnt lgkmcnt(0)
	v_add_co_u32 v17, s0, s18, v17
	s_delay_alu instid0(VALU_DEP_1)
	v_add_co_ci_u32_e64 v18, s0, s19, v18, s0
	global_load_b32 v0, v[17:18], off
	s_waitcnt vmcnt(0)
	v_subrev_nc_u32_e32 v13, s5, v0
.LBB28_18:
	s_or_b32 exec_lo, exec_lo, s1
	v_cndmask_b32_e64 v17, 0, 1, vcc_lo
	v_dual_mov_b32 v0, 0 :: v_dual_lshlrev_b32 v15, 2, v3
	ds_store_b32 v15, v17 offset:1024
	s_waitcnt vmcnt(0) lgkmcnt(0)
	s_barrier
	buffer_gl0_inv
	ds_load_b32 v17, v0 offset:1024
	s_waitcnt lgkmcnt(0)
	v_cmp_lt_u32_e32 vcc_lo, 3, v17
	s_cbranch_vccnz .LBB28_58
; %bb.19:
	s_cmp_eq_u32 s8, 0
	v_bfe_u32 v18, v2, 2, 2
	s_cselect_b32 vcc_lo, -1, 0
	v_and_b32_e32 v19, 3, v2
	v_min_i32_e32 v36, v13, v1
	v_lshl_or_b32 v29, v3, 2, 0x410
	v_and_b32_e32 v1, 48, v2
	v_lshlrev_b32_e32 v3, 2, v18
	v_lshlrev_b32_e32 v13, 2, v19
	s_clause 0x2
	s_load_b128 s[12:15], s[2:3], 0x68
	s_load_b64 s[20:21], s[2:3], 0x58
	s_load_b64 s[22:23], s[2:3], 0x30
	v_lshlrev_b32_e32 v30, 4, v2
	v_cmp_gt_u32_e64 s1, 2, v2
	v_lshl_or_b32 v33, v2, 2, 0x400
	v_cmp_eq_u32_e64 s2, 0, v2
	v_mov_b32_e32 v2, v0
	v_or3_b32 v3, v3, v1, v19
	v_or3_b32 v1, v13, v1, v18
	v_or_b32_e32 v28, 0x400, v15
	v_mov_b32_e32 v35, 1
	s_cmp_lg_u32 s8, 0
	v_lshlrev_b32_e32 v31, 4, v3
	v_dual_mov_b32 v1, v0 :: v_dual_lshlrev_b32 v32, 4, v1
	v_mov_b32_e32 v3, v0
	s_cselect_b32 s7, -1, 0
	s_mul_i32 s8, s11, s11
	s_delay_alu instid0(VALU_DEP_2) | instskip(SKIP_3) | instid1(VALU_DEP_2)
	v_cndmask_b32_e32 v34, v31, v32, vcc_lo
	v_cndmask_b32_e32 v21, v19, v18, vcc_lo
	v_max_i32_e32 v15, v18, v19
	v_cndmask_b32_e32 v20, v18, v19, vcc_lo
	v_cmp_gt_i32_e64 s0, s11, v15
	s_branch .LBB28_21
.LBB28_20:                              ;   in Loop: Header=BB28_21 Depth=1
	s_or_b32 exec_lo, exec_lo, s3
	s_waitcnt lgkmcnt(0)
	s_barrier
	buffer_gl0_inv
	ds_load_b32 v15, v0 offset:1024
	v_add_nc_u32_e32 v16, 1, v16
	v_mov_b32_e32 v36, v13
	s_waitcnt lgkmcnt(0)
	v_cmp_gt_u32_e32 vcc_lo, 4, v15
	s_cbranch_vccz .LBB28_58
.LBB28_21:                              ; =>This Loop Header: Depth=1
                                        ;     Child Loop BB28_24 Depth 2
                                        ;     Child Loop BB28_39 Depth 2
	v_mov_b32_e32 v13, s10
	s_mov_b32 s9, exec_lo
	ds_store_b32 v29, v0
	ds_store_b128 v30, v[0:3]
	s_waitcnt lgkmcnt(0)
	s_barrier
	buffer_gl0_inv
	v_cmpx_lt_i32_e64 v12, v26
	s_cbranch_execz .LBB28_36
; %bb.22:                               ;   in Loop: Header=BB28_21 Depth=1
	v_mul_lo_u32 v15, s11, v12
	v_ashrrev_i32_e32 v13, 31, v12
	s_mov_b32 s24, 0
	s_mov_b32 s25, 0
	s_delay_alu instid0(VALU_DEP_1) | instskip(SKIP_1) | instid1(VALU_DEP_4)
	v_lshlrev_b64 v[37:38], 2, v[12:13]
	v_mov_b32_e32 v13, s10
	v_add_nc_u32_e32 v17, v19, v15
	v_add_nc_u32_e32 v15, v18, v15
	s_delay_alu instid0(VALU_DEP_2) | instskip(NEXT) | instid1(VALU_DEP_2)
	v_mad_u64_u32 v[22:23], null, s11, v17, v[18:19]
	v_mad_u64_u32 v[23:24], null, s11, v15, v[19:20]
	v_add_co_u32 v24, vcc_lo, s16, v37
	v_add_co_ci_u32_e32 v25, vcc_lo, s17, v38, vcc_lo
	s_branch .LBB28_24
.LBB28_23:                              ;   in Loop: Header=BB28_24 Depth=2
	s_or_b32 exec_lo, exec_lo, s26
	v_dual_mov_b32 v17, v12 :: v_dual_mov_b32 v12, v15
	s_and_b32 s3, exec_lo, s27
	s_delay_alu instid0(SALU_CYCLE_1) | instskip(NEXT) | instid1(SALU_CYCLE_1)
	s_or_b32 s24, s3, s24
	s_and_not1_b32 exec_lo, exec_lo, s24
	s_cbranch_execz .LBB28_35
.LBB28_24:                              ;   Parent Loop BB28_21 Depth=1
                                        ; =>  This Inner Loop Header: Depth=2
	global_load_b32 v15, v[24:25], off
	s_waitcnt vmcnt(0)
	v_subrev_nc_u32_e32 v15, s4, v15
	s_delay_alu instid0(VALU_DEP_1) | instskip(NEXT) | instid1(VALU_DEP_1)
	v_cmp_le_i32_e64 s3, v15, v36
	s_and_saveexec_b32 s26, s3
	s_delay_alu instid0(SALU_CYCLE_1)
	s_xor_b32 s26, exec_lo, s26
	s_cbranch_execz .LBB28_28
; %bb.25:                               ;   in Loop: Header=BB28_24 Depth=2
	ds_store_b32 v29, v35
	s_and_saveexec_b32 s27, s0
	s_cbranch_execz .LBB28_34
; %bb.26:                               ;   in Loop: Header=BB28_24 Depth=2
	s_and_b32 vcc_lo, exec_lo, s7
	s_cbranch_vccz .LBB28_32
; %bb.27:                               ;   in Loop: Header=BB28_24 Depth=2
	v_add_nc_u32_e32 v37, s25, v23
	s_delay_alu instid0(VALU_DEP_1) | instskip(NEXT) | instid1(VALU_DEP_1)
	v_ashrrev_i32_e32 v38, 31, v37
	v_lshlrev_b64 v[37:38], 4, v[37:38]
	s_delay_alu instid0(VALU_DEP_1) | instskip(NEXT) | instid1(VALU_DEP_2)
	v_add_co_u32 v37, vcc_lo, s22, v37
	v_add_co_ci_u32_e32 v38, vcc_lo, s23, v38, vcc_lo
	global_load_b128 v[37:40], v[37:38], off
	s_waitcnt vmcnt(0)
	v_mul_f64 v[41:42], v[39:40], -v[6:7]
	v_mul_f64 v[43:44], v[4:5], v[39:40]
	s_delay_alu instid0(VALU_DEP_2) | instskip(NEXT) | instid1(VALU_DEP_2)
	v_fma_f64 v[39:40], v[4:5], v[37:38], v[41:42]
	v_fma_f64 v[41:42], v[6:7], v[37:38], v[43:44]
	ds_store_b128 v31, v[39:42]
	s_cbranch_execz .LBB28_33
	s_branch .LBB28_34
.LBB28_28:                              ;   in Loop: Header=BB28_24 Depth=2
	s_and_not1_saveexec_b32 s26, s26
.LBB28_29:                              ;   in Loop: Header=BB28_24 Depth=2
	v_min_i32_e32 v13, v15, v13
.LBB28_30:                              ;   in Loop: Header=BB28_24 Depth=2
	s_or_b32 exec_lo, exec_lo, s26
	s_mov_b32 s27, -1
                                        ; implicit-def: $vgpr15
	s_and_saveexec_b32 s26, s3
	s_cbranch_execz .LBB28_23
; %bb.31:                               ;   in Loop: Header=BB28_24 Depth=2
	v_dual_mov_b32 v12, v26 :: v_dual_add_nc_u32 v15, 1, v12
	v_add_co_u32 v24, s3, v24, 4
	s_delay_alu instid0(VALU_DEP_1) | instskip(NEXT) | instid1(VALU_DEP_3)
	v_add_co_ci_u32_e64 v25, s3, 0, v25, s3
	v_cmp_ge_i32_e32 vcc_lo, v15, v26
	s_add_i32 s25, s25, s8
	s_or_not1_b32 s27, vcc_lo, exec_lo
	s_branch .LBB28_23
.LBB28_32:                              ;   in Loop: Header=BB28_24 Depth=2
.LBB28_33:                              ;   in Loop: Header=BB28_24 Depth=2
	v_add_nc_u32_e32 v37, s25, v22
	s_delay_alu instid0(VALU_DEP_1) | instskip(NEXT) | instid1(VALU_DEP_1)
	v_ashrrev_i32_e32 v38, 31, v37
	v_lshlrev_b64 v[37:38], 4, v[37:38]
	s_delay_alu instid0(VALU_DEP_1) | instskip(NEXT) | instid1(VALU_DEP_2)
	v_add_co_u32 v37, vcc_lo, s22, v37
	v_add_co_ci_u32_e32 v38, vcc_lo, s23, v38, vcc_lo
	global_load_b128 v[37:40], v[37:38], off
	s_waitcnt vmcnt(0)
	v_mul_f64 v[41:42], v[39:40], -v[6:7]
	v_mul_f64 v[43:44], v[4:5], v[39:40]
	s_delay_alu instid0(VALU_DEP_2) | instskip(NEXT) | instid1(VALU_DEP_2)
	v_fma_f64 v[39:40], v[4:5], v[37:38], v[41:42]
	v_fma_f64 v[41:42], v[6:7], v[37:38], v[43:44]
	ds_store_b128 v32, v[39:42]
.LBB28_34:                              ;   in Loop: Header=BB28_24 Depth=2
	s_or_b32 exec_lo, exec_lo, s27
                                        ; implicit-def: $vgpr15
	s_and_not1_saveexec_b32 s26, s26
	s_cbranch_execz .LBB28_30
	s_branch .LBB28_29
.LBB28_35:                              ;   in Loop: Header=BB28_21 Depth=1
	s_or_b32 exec_lo, exec_lo, s24
	v_mov_b32_e32 v12, v17
.LBB28_36:                              ;   in Loop: Header=BB28_21 Depth=1
	s_or_b32 exec_lo, exec_lo, s9
	s_delay_alu instid0(SALU_CYCLE_1)
	s_mov_b32 s9, exec_lo
	s_waitcnt lgkmcnt(0)
	s_barrier
	buffer_gl0_inv
	v_cmpx_lt_i32_e64 v14, v27
	s_cbranch_execz .LBB28_51
; %bb.37:                               ;   in Loop: Header=BB28_21 Depth=1
	v_mul_lo_u32 v17, s11, v14
	v_ashrrev_i32_e32 v15, 31, v14
	s_mov_b32 s24, 0
	s_mov_b32 s25, 0
	s_delay_alu instid0(VALU_DEP_1) | instskip(NEXT) | instid1(VALU_DEP_3)
	v_lshlrev_b64 v[37:38], 2, v[14:15]
	v_add_nc_u32_e32 v24, v19, v17
	v_add_nc_u32_e32 v17, v18, v17
	s_delay_alu instid0(VALU_DEP_2) | instskip(NEXT) | instid1(VALU_DEP_2)
	v_mad_u64_u32 v[22:23], null, s11, v24, v[18:19]
	v_mad_u64_u32 v[23:24], null, s11, v17, v[19:20]
	v_add_co_u32 v24, vcc_lo, s18, v37
	v_add_co_ci_u32_e32 v25, vcc_lo, s19, v38, vcc_lo
	s_branch .LBB28_39
.LBB28_38:                              ;   in Loop: Header=BB28_39 Depth=2
	s_or_b32 exec_lo, exec_lo, s26
	v_dual_mov_b32 v17, v14 :: v_dual_mov_b32 v14, v15
	s_and_b32 s3, exec_lo, s27
	s_delay_alu instid0(SALU_CYCLE_1) | instskip(NEXT) | instid1(SALU_CYCLE_1)
	s_or_b32 s24, s3, s24
	s_and_not1_b32 exec_lo, exec_lo, s24
	s_cbranch_execz .LBB28_50
.LBB28_39:                              ;   Parent Loop BB28_21 Depth=1
                                        ; =>  This Inner Loop Header: Depth=2
	global_load_b32 v15, v[24:25], off
	s_waitcnt vmcnt(0)
	v_subrev_nc_u32_e32 v15, s5, v15
	s_delay_alu instid0(VALU_DEP_1) | instskip(NEXT) | instid1(VALU_DEP_1)
	v_cmp_le_i32_e64 s3, v15, v36
	s_and_saveexec_b32 s26, s3
	s_delay_alu instid0(SALU_CYCLE_1)
	s_xor_b32 s26, exec_lo, s26
	s_cbranch_execz .LBB28_43
; %bb.40:                               ;   in Loop: Header=BB28_39 Depth=2
	ds_store_b32 v29, v35
	s_and_saveexec_b32 s27, s0
	s_cbranch_execz .LBB28_49
; %bb.41:                               ;   in Loop: Header=BB28_39 Depth=2
	s_and_b32 vcc_lo, exec_lo, s7
	s_cbranch_vccz .LBB28_47
; %bb.42:                               ;   in Loop: Header=BB28_39 Depth=2
	v_add_nc_u32_e32 v37, s25, v23
	ds_load_b128 v[41:44], v31
	v_ashrrev_i32_e32 v38, 31, v37
	s_delay_alu instid0(VALU_DEP_1) | instskip(NEXT) | instid1(VALU_DEP_1)
	v_lshlrev_b64 v[37:38], 4, v[37:38]
	v_add_co_u32 v37, vcc_lo, s20, v37
	s_delay_alu instid0(VALU_DEP_2) | instskip(SKIP_4) | instid1(VALU_DEP_2)
	v_add_co_ci_u32_e32 v38, vcc_lo, s21, v38, vcc_lo
	global_load_b128 v[37:40], v[37:38], off
	s_waitcnt vmcnt(0) lgkmcnt(0)
	v_fma_f64 v[41:42], v[8:9], v[37:38], v[41:42]
	v_fma_f64 v[43:44], v[10:11], v[37:38], v[43:44]
	v_fma_f64 v[37:38], -v[10:11], v[39:40], v[41:42]
	s_delay_alu instid0(VALU_DEP_2)
	v_fma_f64 v[39:40], v[8:9], v[39:40], v[43:44]
	ds_store_b128 v31, v[37:40]
	s_cbranch_execz .LBB28_48
	s_branch .LBB28_49
.LBB28_43:                              ;   in Loop: Header=BB28_39 Depth=2
	s_and_not1_saveexec_b32 s26, s26
.LBB28_44:                              ;   in Loop: Header=BB28_39 Depth=2
	v_min_i32_e32 v13, v15, v13
.LBB28_45:                              ;   in Loop: Header=BB28_39 Depth=2
	s_or_b32 exec_lo, exec_lo, s26
	s_mov_b32 s27, -1
                                        ; implicit-def: $vgpr15
	s_and_saveexec_b32 s26, s3
	s_cbranch_execz .LBB28_38
; %bb.46:                               ;   in Loop: Header=BB28_39 Depth=2
	v_dual_mov_b32 v14, v27 :: v_dual_add_nc_u32 v15, 1, v14
	v_add_co_u32 v24, s3, v24, 4
	s_delay_alu instid0(VALU_DEP_1) | instskip(NEXT) | instid1(VALU_DEP_3)
	v_add_co_ci_u32_e64 v25, s3, 0, v25, s3
	v_cmp_ge_i32_e32 vcc_lo, v15, v27
	s_add_i32 s25, s25, s8
	s_or_not1_b32 s27, vcc_lo, exec_lo
	s_branch .LBB28_38
.LBB28_47:                              ;   in Loop: Header=BB28_39 Depth=2
.LBB28_48:                              ;   in Loop: Header=BB28_39 Depth=2
	v_add_nc_u32_e32 v37, s25, v22
	ds_load_b128 v[41:44], v32
	v_ashrrev_i32_e32 v38, 31, v37
	s_delay_alu instid0(VALU_DEP_1) | instskip(NEXT) | instid1(VALU_DEP_1)
	v_lshlrev_b64 v[37:38], 4, v[37:38]
	v_add_co_u32 v37, vcc_lo, s20, v37
	s_delay_alu instid0(VALU_DEP_2) | instskip(SKIP_4) | instid1(VALU_DEP_2)
	v_add_co_ci_u32_e32 v38, vcc_lo, s21, v38, vcc_lo
	global_load_b128 v[37:40], v[37:38], off
	s_waitcnt vmcnt(0) lgkmcnt(0)
	v_fma_f64 v[41:42], v[8:9], v[37:38], v[41:42]
	v_fma_f64 v[43:44], v[10:11], v[37:38], v[43:44]
	v_fma_f64 v[37:38], -v[10:11], v[39:40], v[41:42]
	s_delay_alu instid0(VALU_DEP_2)
	v_fma_f64 v[39:40], v[8:9], v[39:40], v[43:44]
	ds_store_b128 v32, v[37:40]
.LBB28_49:                              ;   in Loop: Header=BB28_39 Depth=2
	s_or_b32 exec_lo, exec_lo, s27
                                        ; implicit-def: $vgpr15
	s_and_not1_saveexec_b32 s26, s26
	s_cbranch_execz .LBB28_45
	s_branch .LBB28_44
.LBB28_50:                              ;   in Loop: Header=BB28_21 Depth=1
	s_or_b32 exec_lo, exec_lo, s24
	v_mov_b32_e32 v14, v17
.LBB28_51:                              ;   in Loop: Header=BB28_21 Depth=1
	s_or_b32 exec_lo, exec_lo, s9
	s_waitcnt lgkmcnt(0)
	s_barrier
	buffer_gl0_inv
	ds_load_b32 v15, v29
	s_mov_b32 s3, exec_lo
	s_waitcnt lgkmcnt(0)
	v_cmpx_ne_u32_e32 0, v15
	s_cbranch_execz .LBB28_54
; %bb.52:                               ;   in Loop: Header=BB28_21 Depth=1
	v_ashrrev_i32_e32 v17, 31, v16
	v_add_nc_u32_e32 v15, s6, v36
	s_delay_alu instid0(VALU_DEP_2) | instskip(NEXT) | instid1(VALU_DEP_1)
	v_lshlrev_b64 v[22:23], 2, v[16:17]
	v_add_co_u32 v22, vcc_lo, s12, v22
	s_delay_alu instid0(VALU_DEP_2)
	v_add_co_ci_u32_e32 v23, vcc_lo, s13, v23, vcc_lo
	global_store_b32 v[22:23], v15, off
	s_and_b32 exec_lo, exec_lo, s0
	s_cbranch_execz .LBB28_54
; %bb.53:                               ;   in Loop: Header=BB28_21 Depth=1
	v_mad_u64_u32 v[22:23], null, v16, s11, v[20:21]
	s_delay_alu instid0(VALU_DEP_1) | instskip(SKIP_2) | instid1(VALU_DEP_1)
	v_mad_u64_u32 v[36:37], null, v22, s11, v[21:22]
	ds_load_2addr_b64 v[22:25], v34 offset1:1
	v_ashrrev_i32_e32 v37, 31, v36
	v_lshlrev_b64 v[36:37], 4, v[36:37]
	s_delay_alu instid0(VALU_DEP_1) | instskip(NEXT) | instid1(VALU_DEP_2)
	v_add_co_u32 v36, vcc_lo, s14, v36
	v_add_co_ci_u32_e32 v37, vcc_lo, s15, v37, vcc_lo
	s_waitcnt lgkmcnt(0)
	global_store_b128 v[36:37], v[22:25], off
.LBB28_54:                              ;   in Loop: Header=BB28_21 Depth=1
	s_or_b32 exec_lo, exec_lo, s3
	v_cmp_le_i32_e32 vcc_lo, s10, v13
	s_waitcnt_vscnt null, 0x0
	s_barrier
	buffer_gl0_inv
	v_cndmask_b32_e64 v15, 0, 1, vcc_lo
	s_barrier
	buffer_gl0_inv
	ds_store_b32 v28, v15
	s_waitcnt lgkmcnt(0)
	s_barrier
	buffer_gl0_inv
	s_and_saveexec_b32 s3, s1
	s_cbranch_execz .LBB28_56
; %bb.55:                               ;   in Loop: Header=BB28_21 Depth=1
	ds_load_2addr_b32 v[22:23], v33 offset1:2
	s_waitcnt lgkmcnt(0)
	v_add_nc_u32_e32 v15, v23, v22
	ds_store_b32 v33, v15
.LBB28_56:                              ;   in Loop: Header=BB28_21 Depth=1
	s_or_b32 exec_lo, exec_lo, s3
	s_waitcnt lgkmcnt(0)
	s_barrier
	buffer_gl0_inv
	s_and_saveexec_b32 s3, s2
	s_cbranch_execz .LBB28_20
; %bb.57:                               ;   in Loop: Header=BB28_21 Depth=1
	ds_load_b64 v[22:23], v0 offset:1024
	s_waitcnt lgkmcnt(0)
	v_add_nc_u32_e32 v15, v23, v22
	ds_store_b32 v0, v15 offset:1024
	s_branch .LBB28_20
.LBB28_58:
	s_endpgm
	.section	.rodata,"a",@progbits
	.p2align	6, 0x0
	.amdhsa_kernel _ZN9rocsparseL35bsrgeam_wf_per_row_multipass_kernelILj64ELj4E21rocsparse_complex_numIdEEEv20rocsparse_direction_iiiNS_24const_host_device_scalarIT1_EEPKiS8_PKS5_S6_S8_S8_SA_S8_PiPS5_21rocsparse_index_base_SD_SD_b
		.amdhsa_group_segment_fixed_size 2080
		.amdhsa_private_segment_fixed_size 0
		.amdhsa_kernarg_size 136
		.amdhsa_user_sgpr_count 15
		.amdhsa_user_sgpr_dispatch_ptr 1
		.amdhsa_user_sgpr_queue_ptr 0
		.amdhsa_user_sgpr_kernarg_segment_ptr 1
		.amdhsa_user_sgpr_dispatch_id 0
		.amdhsa_user_sgpr_private_segment_size 0
		.amdhsa_wavefront_size32 1
		.amdhsa_uses_dynamic_stack 0
		.amdhsa_enable_private_segment 0
		.amdhsa_system_sgpr_workgroup_id_x 1
		.amdhsa_system_sgpr_workgroup_id_y 0
		.amdhsa_system_sgpr_workgroup_id_z 0
		.amdhsa_system_sgpr_workgroup_info 0
		.amdhsa_system_vgpr_workitem_id 2
		.amdhsa_next_free_vgpr 45
		.amdhsa_next_free_sgpr 28
		.amdhsa_reserve_vcc 1
		.amdhsa_float_round_mode_32 0
		.amdhsa_float_round_mode_16_64 0
		.amdhsa_float_denorm_mode_32 3
		.amdhsa_float_denorm_mode_16_64 3
		.amdhsa_dx10_clamp 1
		.amdhsa_ieee_mode 1
		.amdhsa_fp16_overflow 0
		.amdhsa_workgroup_processor_mode 1
		.amdhsa_memory_ordered 1
		.amdhsa_forward_progress 0
		.amdhsa_shared_vgpr_count 0
		.amdhsa_exception_fp_ieee_invalid_op 0
		.amdhsa_exception_fp_denorm_src 0
		.amdhsa_exception_fp_ieee_div_zero 0
		.amdhsa_exception_fp_ieee_overflow 0
		.amdhsa_exception_fp_ieee_underflow 0
		.amdhsa_exception_fp_ieee_inexact 0
		.amdhsa_exception_int_div_zero 0
	.end_amdhsa_kernel
	.section	.text._ZN9rocsparseL35bsrgeam_wf_per_row_multipass_kernelILj64ELj4E21rocsparse_complex_numIdEEEv20rocsparse_direction_iiiNS_24const_host_device_scalarIT1_EEPKiS8_PKS5_S6_S8_S8_SA_S8_PiPS5_21rocsparse_index_base_SD_SD_b,"axG",@progbits,_ZN9rocsparseL35bsrgeam_wf_per_row_multipass_kernelILj64ELj4E21rocsparse_complex_numIdEEEv20rocsparse_direction_iiiNS_24const_host_device_scalarIT1_EEPKiS8_PKS5_S6_S8_S8_SA_S8_PiPS5_21rocsparse_index_base_SD_SD_b,comdat
.Lfunc_end28:
	.size	_ZN9rocsparseL35bsrgeam_wf_per_row_multipass_kernelILj64ELj4E21rocsparse_complex_numIdEEEv20rocsparse_direction_iiiNS_24const_host_device_scalarIT1_EEPKiS8_PKS5_S6_S8_S8_SA_S8_PiPS5_21rocsparse_index_base_SD_SD_b, .Lfunc_end28-_ZN9rocsparseL35bsrgeam_wf_per_row_multipass_kernelILj64ELj4E21rocsparse_complex_numIdEEEv20rocsparse_direction_iiiNS_24const_host_device_scalarIT1_EEPKiS8_PKS5_S6_S8_S8_SA_S8_PiPS5_21rocsparse_index_base_SD_SD_b
                                        ; -- End function
	.section	.AMDGPU.csdata,"",@progbits
; Kernel info:
; codeLenInByte = 2492
; NumSgprs: 30
; NumVgprs: 45
; ScratchSize: 0
; MemoryBound: 0
; FloatMode: 240
; IeeeMode: 1
; LDSByteSize: 2080 bytes/workgroup (compile time only)
; SGPRBlocks: 3
; VGPRBlocks: 5
; NumSGPRsForWavesPerEU: 30
; NumVGPRsForWavesPerEU: 45
; Occupancy: 16
; WaveLimiterHint : 0
; COMPUTE_PGM_RSRC2:SCRATCH_EN: 0
; COMPUTE_PGM_RSRC2:USER_SGPR: 15
; COMPUTE_PGM_RSRC2:TRAP_HANDLER: 0
; COMPUTE_PGM_RSRC2:TGID_X_EN: 1
; COMPUTE_PGM_RSRC2:TGID_Y_EN: 0
; COMPUTE_PGM_RSRC2:TGID_Z_EN: 0
; COMPUTE_PGM_RSRC2:TIDIG_COMP_CNT: 2
	.section	.text._ZN9rocsparseL35bsrgeam_wf_per_row_multipass_kernelILj64ELj8E21rocsparse_complex_numIdEEEv20rocsparse_direction_iiiNS_24const_host_device_scalarIT1_EEPKiS8_PKS5_S6_S8_S8_SA_S8_PiPS5_21rocsparse_index_base_SD_SD_b,"axG",@progbits,_ZN9rocsparseL35bsrgeam_wf_per_row_multipass_kernelILj64ELj8E21rocsparse_complex_numIdEEEv20rocsparse_direction_iiiNS_24const_host_device_scalarIT1_EEPKiS8_PKS5_S6_S8_S8_SA_S8_PiPS5_21rocsparse_index_base_SD_SD_b,comdat
	.globl	_ZN9rocsparseL35bsrgeam_wf_per_row_multipass_kernelILj64ELj8E21rocsparse_complex_numIdEEEv20rocsparse_direction_iiiNS_24const_host_device_scalarIT1_EEPKiS8_PKS5_S6_S8_S8_SA_S8_PiPS5_21rocsparse_index_base_SD_SD_b ; -- Begin function _ZN9rocsparseL35bsrgeam_wf_per_row_multipass_kernelILj64ELj8E21rocsparse_complex_numIdEEEv20rocsparse_direction_iiiNS_24const_host_device_scalarIT1_EEPKiS8_PKS5_S6_S8_S8_SA_S8_PiPS5_21rocsparse_index_base_SD_SD_b
	.p2align	8
	.type	_ZN9rocsparseL35bsrgeam_wf_per_row_multipass_kernelILj64ELj8E21rocsparse_complex_numIdEEEv20rocsparse_direction_iiiNS_24const_host_device_scalarIT1_EEPKiS8_PKS5_S6_S8_S8_SA_S8_PiPS5_21rocsparse_index_base_SD_SD_b,@function
_ZN9rocsparseL35bsrgeam_wf_per_row_multipass_kernelILj64ELj8E21rocsparse_complex_numIdEEEv20rocsparse_direction_iiiNS_24const_host_device_scalarIT1_EEPKiS8_PKS5_S6_S8_S8_SA_S8_PiPS5_21rocsparse_index_base_SD_SD_b: ; @_ZN9rocsparseL35bsrgeam_wf_per_row_multipass_kernelILj64ELj8E21rocsparse_complex_numIdEEEv20rocsparse_direction_iiiNS_24const_host_device_scalarIT1_EEPKiS8_PKS5_S6_S8_S8_SA_S8_PiPS5_21rocsparse_index_base_SD_SD_b
; %bb.0:
	s_load_b128 s[4:7], s[2:3], 0x78
	s_load_b64 s[12:13], s[0:1], 0x4
	s_load_b128 s[16:19], s[2:3], 0x10
	v_bfe_u32 v1, v0, 10, 10
	s_mov_b64 s[0:1], src_shared_base
	s_load_b128 s[8:11], s[2:3], 0x38
	v_and_b32_e32 v2, 0x3ff, v0
	v_bfe_u32 v0, v0, 20, 10
	s_waitcnt lgkmcnt(0)
	s_bitcmp1_b32 s7, 0
	v_mul_u32_u24_e32 v1, s13, v1
	s_cselect_b32 s0, -1, 0
	s_delay_alu instid0(SALU_CYCLE_1)
	s_and_b32 vcc_lo, s0, exec_lo
	s_cselect_b32 s7, s1, s17
	s_lshr_b32 s12, s12, 16
	v_dual_mov_b32 v3, s8 :: v_dual_mov_b32 v4, s9
	s_mul_i32 s12, s12, s13
	v_mov_b32_e32 v6, s7
	v_mad_u32_u24 v1, s12, v2, v1
	s_xor_b32 s7, s0, -1
	s_delay_alu instid0(VALU_DEP_1) | instskip(SKIP_1) | instid1(VALU_DEP_2)
	v_add_lshl_u32 v7, v1, v0, 3
	v_dual_mov_b32 v0, s16 :: v_dual_mov_b32 v1, s17
	v_add_nc_u32_e32 v5, 0x608, v7
	ds_store_2addr_b64 v7, v[3:4], v[0:1] offset0:129 offset1:193
	v_add_nc_u32_e32 v0, 0x408, v7
	v_cndmask_b32_e64 v5, s16, v5, s0
	flat_load_b64 v[4:5], v[5:6]
	v_dual_mov_b32 v6, s18 :: v_dual_mov_b32 v7, s19
	s_cbranch_vccnz .LBB29_2
; %bb.1:
	v_dual_mov_b32 v6, s16 :: v_dual_mov_b32 v7, s17
	flat_load_b64 v[6:7], v[6:7] offset:8
.LBB29_2:
	s_and_b32 s12, s0, exec_lo
	s_cselect_b32 s1, s1, s9
	v_cndmask_b32_e64 v0, s8, v0, s0
	v_dual_mov_b32 v1, s1 :: v_dual_mov_b32 v10, s10
	s_load_b64 s[0:1], s[2:3], 0x20
	v_mov_b32_e32 v11, s11
	s_and_not1_b32 vcc_lo, exec_lo, s7
	flat_load_b64 v[8:9], v[0:1]
	s_cbranch_vccnz .LBB29_4
; %bb.3:
	v_dual_mov_b32 v0, s8 :: v_dual_mov_b32 v1, s9
	flat_load_b64 v[10:11], v[0:1] offset:8
.LBB29_4:
	s_load_b128 s[8:11], s[2:3], 0x0
	v_mov_b32_e32 v0, s15
	v_mov_b32_e32 v26, 0
	;; [unrolled: 1-line block ×3, first 2 shown]
	s_waitcnt lgkmcnt(0)
	s_cmp_ge_i32 s15, s9
	s_cselect_b32 s7, -1, 0
	s_cmp_lt_i32 s15, s9
	s_cselect_b32 s9, -1, 0
	s_delay_alu instid0(SALU_CYCLE_1)
	s_and_saveexec_b32 s12, s9
	s_cbranch_execz .LBB29_6
; %bb.5:
	v_ashrrev_i32_e64 v1, 31, s15
	s_delay_alu instid0(VALU_DEP_1) | instskip(NEXT) | instid1(VALU_DEP_1)
	v_lshlrev_b64 v[12:13], 2, v[0:1]
	v_add_co_u32 v12, vcc_lo, s0, v12
	s_delay_alu instid0(VALU_DEP_2)
	v_add_co_ci_u32_e32 v13, vcc_lo, s1, v13, vcc_lo
	global_load_b32 v1, v[12:13], off
	s_waitcnt vmcnt(0)
	v_subrev_nc_u32_e32 v12, s4, v1
.LBB29_6:
	s_or_b32 exec_lo, exec_lo, s12
	s_load_b64 s[12:13], s[2:3], 0x48
	s_and_saveexec_b32 s14, s9
	s_cbranch_execz .LBB29_8
; %bb.7:
	v_ashrrev_i32_e64 v1, 31, s15
	s_delay_alu instid0(VALU_DEP_1) | instskip(NEXT) | instid1(VALU_DEP_1)
	v_lshlrev_b64 v[13:14], 2, v[0:1]
	v_add_co_u32 v13, vcc_lo, s0, v13
	s_delay_alu instid0(VALU_DEP_2)
	v_add_co_ci_u32_e32 v14, vcc_lo, s1, v14, vcc_lo
	global_load_b32 v1, v[13:14], off offset:4
	s_waitcnt vmcnt(0)
	v_subrev_nc_u32_e32 v26, s4, v1
.LBB29_8:
	s_or_b32 exec_lo, exec_lo, s14
	v_dual_mov_b32 v27, 0 :: v_dual_mov_b32 v14, 0
	s_and_saveexec_b32 s0, s9
	s_cbranch_execz .LBB29_10
; %bb.9:
	v_ashrrev_i32_e64 v1, 31, s15
	s_delay_alu instid0(VALU_DEP_1) | instskip(SKIP_1) | instid1(VALU_DEP_1)
	v_lshlrev_b64 v[13:14], 2, v[0:1]
	s_waitcnt lgkmcnt(0)
	v_add_co_u32 v13, vcc_lo, s12, v13
	s_delay_alu instid0(VALU_DEP_2)
	v_add_co_ci_u32_e32 v14, vcc_lo, s13, v14, vcc_lo
	global_load_b32 v1, v[13:14], off
	s_waitcnt vmcnt(0)
	v_subrev_nc_u32_e32 v14, s5, v1
.LBB29_10:
	s_or_b32 exec_lo, exec_lo, s0
	s_and_saveexec_b32 s0, s9
	s_cbranch_execz .LBB29_12
; %bb.11:
	v_ashrrev_i32_e64 v1, 31, s15
	s_delay_alu instid0(VALU_DEP_1) | instskip(SKIP_1) | instid1(VALU_DEP_1)
	v_lshlrev_b64 v[15:16], 2, v[0:1]
	s_waitcnt lgkmcnt(0)
	v_add_co_u32 v15, vcc_lo, s12, v15
	s_delay_alu instid0(VALU_DEP_2)
	v_add_co_ci_u32_e32 v16, vcc_lo, s13, v16, vcc_lo
	global_load_b32 v1, v[15:16], off offset:4
	s_waitcnt vmcnt(0)
	v_subrev_nc_u32_e32 v27, s5, v1
.LBB29_12:
	s_or_b32 exec_lo, exec_lo, s0
	s_load_b64 s[16:17], s[2:3], 0x28
	v_mov_b32_e32 v16, 0
	s_and_saveexec_b32 s0, s9
	s_cbranch_execz .LBB29_14
; %bb.13:
	s_waitcnt lgkmcnt(0)
	s_load_b64 s[12:13], s[2:3], 0x60
	v_ashrrev_i32_e64 v1, 31, s15
	s_delay_alu instid0(VALU_DEP_1) | instskip(SKIP_1) | instid1(VALU_DEP_1)
	v_lshlrev_b64 v[0:1], 2, v[0:1]
	s_waitcnt lgkmcnt(0)
	v_add_co_u32 v0, vcc_lo, s12, v0
	s_delay_alu instid0(VALU_DEP_2)
	v_add_co_ci_u32_e32 v1, vcc_lo, s13, v1, vcc_lo
	global_load_b32 v0, v[0:1], off
	s_waitcnt vmcnt(0)
	v_subrev_nc_u32_e32 v16, s6, v0
.LBB29_14:
	s_or_b32 exec_lo, exec_lo, s0
	s_load_b64 s[18:19], s[2:3], 0x50
	v_mov_b32_e32 v1, s10
	s_mov_b32 s0, exec_lo
	v_cmpx_lt_i32_e64 v12, v26
	s_cbranch_execz .LBB29_16
; %bb.15:
	v_ashrrev_i32_e32 v13, 31, v12
	s_delay_alu instid0(VALU_DEP_1) | instskip(SKIP_1) | instid1(VALU_DEP_1)
	v_lshlrev_b64 v[0:1], 2, v[12:13]
	s_waitcnt lgkmcnt(0)
	v_add_co_u32 v0, vcc_lo, s16, v0
	s_delay_alu instid0(VALU_DEP_2)
	v_add_co_ci_u32_e32 v1, vcc_lo, s17, v1, vcc_lo
	global_load_b32 v0, v[0:1], off
	s_waitcnt vmcnt(0)
	v_subrev_nc_u32_e32 v1, s4, v0
.LBB29_16:
	s_or_b32 exec_lo, exec_lo, s0
	v_mov_b32_e32 v3, s10
	s_mov_b32 s0, exec_lo
	v_cmpx_lt_i32_e64 v14, v27
	s_cbranch_execz .LBB29_18
; %bb.17:
	v_ashrrev_i32_e32 v15, 31, v14
	s_delay_alu instid0(VALU_DEP_1) | instskip(SKIP_1) | instid1(VALU_DEP_1)
	v_lshlrev_b64 v[17:18], 2, v[14:15]
	s_waitcnt lgkmcnt(0)
	v_add_co_u32 v17, vcc_lo, s18, v17
	s_delay_alu instid0(VALU_DEP_2)
	v_add_co_ci_u32_e32 v18, vcc_lo, s19, v18, vcc_lo
	global_load_b32 v0, v[17:18], off
	s_waitcnt vmcnt(0)
	v_subrev_nc_u32_e32 v3, s5, v0
.LBB29_18:
	s_or_b32 exec_lo, exec_lo, s0
	v_cndmask_b32_e64 v13, 0, 1, s7
	v_mov_b32_e32 v0, 0
	ds_store_b32 v0, v13 offset:1024
	s_waitcnt vmcnt(0) lgkmcnt(0)
	s_barrier
	buffer_gl0_inv
	ds_load_b32 v13, v0 offset:1024
	s_waitcnt lgkmcnt(0)
	v_cmp_ne_u32_e32 vcc_lo, 0, v13
	s_cbranch_vccz .LBB29_20
.LBB29_19:
	s_endpgm
.LBB29_20:
	s_load_b128 s[12:15], s[2:3], 0x68
	v_dual_mov_b32 v29, 0x404 :: v_dual_and_b32 v18, 7, v2
	v_lshrrev_b32_e32 v19, 3, v2
	s_clause 0x1
	s_load_b64 s[20:21], s[2:3], 0x58
	s_load_b64 s[2:3], s[2:3], 0x30
	s_cmp_eq_u32 s8, 0
	v_mov_b32_e32 v28, 0x400
	v_min_i32_e32 v13, v3, v1
	v_lshlrev_b32_e32 v3, 4, v18
	s_cselect_b32 vcc_lo, -1, 0
	v_dual_cndmask_b32 v20, v19, v18 :: v_dual_lshlrev_b32 v15, 4, v19
	v_max_i32_e32 v1, v19, v18
	s_delay_alu instid0(VALU_DEP_3) | instskip(SKIP_1) | instid1(VALU_DEP_4)
	v_lshl_or_b32 v31, v19, 7, v3
	v_dual_cndmask_b32 v21, v18, v19 :: v_dual_lshlrev_b32 v30, 4, v2
	v_lshl_or_b32 v32, v18, 7, v15
	s_delay_alu instid0(VALU_DEP_4) | instskip(SKIP_1) | instid1(VALU_DEP_3)
	v_cmp_gt_i32_e64 s0, s11, v1
	v_dual_mov_b32 v1, v0 :: v_dual_mov_b32 v34, 1
	v_dual_mov_b32 v2, v0 :: v_dual_cndmask_b32 v33, v31, v32
	v_mov_b32_e32 v3, v0
	s_cmp_lg_u32 s8, 0
	s_mul_i32 s8, s11, s11
	s_cselect_b32 s7, -1, 0
	s_branch .LBB29_22
.LBB29_21:                              ;   in Loop: Header=BB29_22 Depth=1
	s_or_b32 exec_lo, exec_lo, s1
	v_cmp_le_i32_e32 vcc_lo, s10, v13
	s_waitcnt_vscnt null, 0x0
	s_barrier
	buffer_gl0_inv
	v_cndmask_b32_e64 v15, 0, 1, vcc_lo
	s_barrier
	buffer_gl0_inv
	v_add_nc_u32_e32 v16, 1, v16
	ds_store_b32 v28, v15
	s_waitcnt lgkmcnt(0)
	s_barrier
	buffer_gl0_inv
	ds_load_b32 v15, v0 offset:1024
	s_waitcnt lgkmcnt(0)
	v_cmp_eq_u32_e32 vcc_lo, 0, v15
	s_cbranch_vccz .LBB29_19
.LBB29_22:                              ; =>This Loop Header: Depth=1
                                        ;     Child Loop BB29_25 Depth 2
                                        ;     Child Loop BB29_40 Depth 2
	v_mov_b32_e32 v35, v13
	v_mov_b32_e32 v13, s10
	s_mov_b32 s9, exec_lo
	ds_store_b32 v29, v0
	ds_store_b128 v30, v[0:3]
	s_waitcnt lgkmcnt(0)
	s_barrier
	buffer_gl0_inv
	v_cmpx_lt_i32_e64 v12, v26
	s_cbranch_execz .LBB29_37
; %bb.23:                               ;   in Loop: Header=BB29_22 Depth=1
	v_mul_lo_u32 v15, s11, v12
	v_ashrrev_i32_e32 v13, 31, v12
	s_mov_b32 s22, 0
	s_mov_b32 s23, 0
	s_delay_alu instid0(VALU_DEP_1) | instskip(SKIP_1) | instid1(VALU_DEP_4)
	v_lshlrev_b64 v[36:37], 2, v[12:13]
	v_mov_b32_e32 v13, s10
	v_add_nc_u32_e32 v17, v18, v15
	v_add_nc_u32_e32 v15, v19, v15
	s_delay_alu instid0(VALU_DEP_2) | instskip(NEXT) | instid1(VALU_DEP_2)
	v_mad_u64_u32 v[22:23], null, s11, v17, v[19:20]
	v_mad_u64_u32 v[23:24], null, s11, v15, v[18:19]
	v_add_co_u32 v24, vcc_lo, s16, v36
	v_add_co_ci_u32_e32 v25, vcc_lo, s17, v37, vcc_lo
	s_branch .LBB29_25
.LBB29_24:                              ;   in Loop: Header=BB29_25 Depth=2
	s_or_b32 exec_lo, exec_lo, s24
	v_dual_mov_b32 v17, v12 :: v_dual_mov_b32 v12, v15
	s_and_b32 s1, exec_lo, s25
	s_delay_alu instid0(SALU_CYCLE_1) | instskip(NEXT) | instid1(SALU_CYCLE_1)
	s_or_b32 s22, s1, s22
	s_and_not1_b32 exec_lo, exec_lo, s22
	s_cbranch_execz .LBB29_36
.LBB29_25:                              ;   Parent Loop BB29_22 Depth=1
                                        ; =>  This Inner Loop Header: Depth=2
	global_load_b32 v15, v[24:25], off
	s_waitcnt vmcnt(0)
	v_subrev_nc_u32_e32 v15, s4, v15
	s_delay_alu instid0(VALU_DEP_1) | instskip(NEXT) | instid1(VALU_DEP_1)
	v_cmp_le_i32_e64 s1, v15, v35
	s_and_saveexec_b32 s24, s1
	s_delay_alu instid0(SALU_CYCLE_1)
	s_xor_b32 s24, exec_lo, s24
	s_cbranch_execz .LBB29_31
; %bb.26:                               ;   in Loop: Header=BB29_25 Depth=2
	ds_store_b32 v29, v34
	s_and_saveexec_b32 s25, s0
	s_cbranch_execz .LBB29_30
; %bb.27:                               ;   in Loop: Header=BB29_25 Depth=2
	s_and_b32 vcc_lo, exec_lo, s7
	s_cbranch_vccz .LBB29_35
; %bb.28:                               ;   in Loop: Header=BB29_25 Depth=2
	v_add_nc_u32_e32 v36, s23, v23
	s_delay_alu instid0(VALU_DEP_1) | instskip(NEXT) | instid1(VALU_DEP_1)
	v_ashrrev_i32_e32 v37, 31, v36
	v_lshlrev_b64 v[36:37], 4, v[36:37]
	s_delay_alu instid0(VALU_DEP_1) | instskip(NEXT) | instid1(VALU_DEP_2)
	v_add_co_u32 v36, vcc_lo, s2, v36
	v_add_co_ci_u32_e32 v37, vcc_lo, s3, v37, vcc_lo
	global_load_b128 v[36:39], v[36:37], off
	s_waitcnt vmcnt(0)
	v_mul_f64 v[40:41], v[38:39], -v[6:7]
	v_mul_f64 v[42:43], v[4:5], v[38:39]
	s_delay_alu instid0(VALU_DEP_2) | instskip(NEXT) | instid1(VALU_DEP_2)
	v_fma_f64 v[38:39], v[4:5], v[36:37], v[40:41]
	v_fma_f64 v[40:41], v[6:7], v[36:37], v[42:43]
	ds_store_b128 v31, v[38:41]
	s_cbranch_execnz .LBB29_30
.LBB29_29:                              ;   in Loop: Header=BB29_25 Depth=2
	v_add_nc_u32_e32 v36, s23, v22
	s_delay_alu instid0(VALU_DEP_1) | instskip(NEXT) | instid1(VALU_DEP_1)
	v_ashrrev_i32_e32 v37, 31, v36
	v_lshlrev_b64 v[36:37], 4, v[36:37]
	s_delay_alu instid0(VALU_DEP_1) | instskip(NEXT) | instid1(VALU_DEP_2)
	v_add_co_u32 v36, vcc_lo, s2, v36
	v_add_co_ci_u32_e32 v37, vcc_lo, s3, v37, vcc_lo
	global_load_b128 v[36:39], v[36:37], off
	s_waitcnt vmcnt(0)
	v_mul_f64 v[40:41], v[38:39], -v[6:7]
	v_mul_f64 v[42:43], v[4:5], v[38:39]
	s_delay_alu instid0(VALU_DEP_2) | instskip(NEXT) | instid1(VALU_DEP_2)
	v_fma_f64 v[38:39], v[4:5], v[36:37], v[40:41]
	v_fma_f64 v[40:41], v[6:7], v[36:37], v[42:43]
	ds_store_b128 v32, v[38:41]
.LBB29_30:                              ;   in Loop: Header=BB29_25 Depth=2
	s_or_b32 exec_lo, exec_lo, s25
                                        ; implicit-def: $vgpr15
	s_and_not1_saveexec_b32 s24, s24
	s_branch .LBB29_32
.LBB29_31:                              ;   in Loop: Header=BB29_25 Depth=2
	s_and_not1_saveexec_b32 s24, s24
.LBB29_32:                              ;   in Loop: Header=BB29_25 Depth=2
	v_min_i32_e32 v13, v15, v13
; %bb.33:                               ;   in Loop: Header=BB29_25 Depth=2
	s_or_b32 exec_lo, exec_lo, s24
	s_mov_b32 s25, -1
                                        ; implicit-def: $vgpr15
	s_and_saveexec_b32 s24, s1
	s_cbranch_execz .LBB29_24
; %bb.34:                               ;   in Loop: Header=BB29_25 Depth=2
	v_dual_mov_b32 v12, v26 :: v_dual_add_nc_u32 v15, 1, v12
	v_add_co_u32 v24, s1, v24, 4
	s_delay_alu instid0(VALU_DEP_1) | instskip(NEXT) | instid1(VALU_DEP_3)
	v_add_co_ci_u32_e64 v25, s1, 0, v25, s1
	v_cmp_ge_i32_e32 vcc_lo, v15, v26
	s_add_i32 s23, s23, s8
	s_or_not1_b32 s25, vcc_lo, exec_lo
	s_branch .LBB29_24
.LBB29_35:                              ;   in Loop: Header=BB29_25 Depth=2
	s_branch .LBB29_29
.LBB29_36:                              ;   in Loop: Header=BB29_22 Depth=1
	s_or_b32 exec_lo, exec_lo, s22
	v_mov_b32_e32 v12, v17
.LBB29_37:                              ;   in Loop: Header=BB29_22 Depth=1
	s_or_b32 exec_lo, exec_lo, s9
	s_delay_alu instid0(SALU_CYCLE_1)
	s_mov_b32 s9, exec_lo
	s_waitcnt lgkmcnt(0)
	s_barrier
	buffer_gl0_inv
	v_cmpx_lt_i32_e64 v14, v27
	s_cbranch_execz .LBB29_52
; %bb.38:                               ;   in Loop: Header=BB29_22 Depth=1
	v_mul_lo_u32 v17, s11, v14
	v_ashrrev_i32_e32 v15, 31, v14
	s_mov_b32 s22, 0
	s_mov_b32 s23, 0
	s_delay_alu instid0(VALU_DEP_1) | instskip(NEXT) | instid1(VALU_DEP_3)
	v_lshlrev_b64 v[36:37], 2, v[14:15]
	v_add_nc_u32_e32 v24, v18, v17
	v_add_nc_u32_e32 v17, v19, v17
	s_delay_alu instid0(VALU_DEP_2) | instskip(NEXT) | instid1(VALU_DEP_2)
	v_mad_u64_u32 v[22:23], null, s11, v24, v[19:20]
	v_mad_u64_u32 v[23:24], null, s11, v17, v[18:19]
	v_add_co_u32 v24, vcc_lo, s18, v36
	v_add_co_ci_u32_e32 v25, vcc_lo, s19, v37, vcc_lo
	s_branch .LBB29_40
.LBB29_39:                              ;   in Loop: Header=BB29_40 Depth=2
	s_or_b32 exec_lo, exec_lo, s24
	v_dual_mov_b32 v17, v14 :: v_dual_mov_b32 v14, v15
	s_and_b32 s1, exec_lo, s25
	s_delay_alu instid0(SALU_CYCLE_1) | instskip(NEXT) | instid1(SALU_CYCLE_1)
	s_or_b32 s22, s1, s22
	s_and_not1_b32 exec_lo, exec_lo, s22
	s_cbranch_execz .LBB29_51
.LBB29_40:                              ;   Parent Loop BB29_22 Depth=1
                                        ; =>  This Inner Loop Header: Depth=2
	global_load_b32 v15, v[24:25], off
	s_waitcnt vmcnt(0)
	v_subrev_nc_u32_e32 v15, s5, v15
	s_delay_alu instid0(VALU_DEP_1) | instskip(NEXT) | instid1(VALU_DEP_1)
	v_cmp_le_i32_e64 s1, v15, v35
	s_and_saveexec_b32 s24, s1
	s_delay_alu instid0(SALU_CYCLE_1)
	s_xor_b32 s24, exec_lo, s24
	s_cbranch_execz .LBB29_46
; %bb.41:                               ;   in Loop: Header=BB29_40 Depth=2
	ds_store_b32 v29, v34
	s_and_saveexec_b32 s25, s0
	s_cbranch_execz .LBB29_45
; %bb.42:                               ;   in Loop: Header=BB29_40 Depth=2
	s_and_b32 vcc_lo, exec_lo, s7
	s_cbranch_vccz .LBB29_50
; %bb.43:                               ;   in Loop: Header=BB29_40 Depth=2
	v_add_nc_u32_e32 v36, s23, v23
	ds_load_b128 v[40:43], v31
	v_ashrrev_i32_e32 v37, 31, v36
	s_delay_alu instid0(VALU_DEP_1) | instskip(NEXT) | instid1(VALU_DEP_1)
	v_lshlrev_b64 v[36:37], 4, v[36:37]
	v_add_co_u32 v36, vcc_lo, s20, v36
	s_delay_alu instid0(VALU_DEP_2) | instskip(SKIP_4) | instid1(VALU_DEP_2)
	v_add_co_ci_u32_e32 v37, vcc_lo, s21, v37, vcc_lo
	global_load_b128 v[36:39], v[36:37], off
	s_waitcnt vmcnt(0) lgkmcnt(0)
	v_fma_f64 v[40:41], v[8:9], v[36:37], v[40:41]
	v_fma_f64 v[42:43], v[10:11], v[36:37], v[42:43]
	v_fma_f64 v[36:37], -v[10:11], v[38:39], v[40:41]
	s_delay_alu instid0(VALU_DEP_2)
	v_fma_f64 v[38:39], v[8:9], v[38:39], v[42:43]
	ds_store_b128 v31, v[36:39]
	s_cbranch_execnz .LBB29_45
.LBB29_44:                              ;   in Loop: Header=BB29_40 Depth=2
	v_add_nc_u32_e32 v36, s23, v22
	ds_load_b128 v[40:43], v32
	v_ashrrev_i32_e32 v37, 31, v36
	s_delay_alu instid0(VALU_DEP_1) | instskip(NEXT) | instid1(VALU_DEP_1)
	v_lshlrev_b64 v[36:37], 4, v[36:37]
	v_add_co_u32 v36, vcc_lo, s20, v36
	s_delay_alu instid0(VALU_DEP_2) | instskip(SKIP_4) | instid1(VALU_DEP_2)
	v_add_co_ci_u32_e32 v37, vcc_lo, s21, v37, vcc_lo
	global_load_b128 v[36:39], v[36:37], off
	s_waitcnt vmcnt(0) lgkmcnt(0)
	v_fma_f64 v[40:41], v[8:9], v[36:37], v[40:41]
	v_fma_f64 v[42:43], v[10:11], v[36:37], v[42:43]
	v_fma_f64 v[36:37], -v[10:11], v[38:39], v[40:41]
	s_delay_alu instid0(VALU_DEP_2)
	v_fma_f64 v[38:39], v[8:9], v[38:39], v[42:43]
	ds_store_b128 v32, v[36:39]
.LBB29_45:                              ;   in Loop: Header=BB29_40 Depth=2
	s_or_b32 exec_lo, exec_lo, s25
                                        ; implicit-def: $vgpr15
	s_and_not1_saveexec_b32 s24, s24
	s_branch .LBB29_47
.LBB29_46:                              ;   in Loop: Header=BB29_40 Depth=2
	s_and_not1_saveexec_b32 s24, s24
.LBB29_47:                              ;   in Loop: Header=BB29_40 Depth=2
	v_min_i32_e32 v13, v15, v13
; %bb.48:                               ;   in Loop: Header=BB29_40 Depth=2
	s_or_b32 exec_lo, exec_lo, s24
	s_mov_b32 s25, -1
                                        ; implicit-def: $vgpr15
	s_and_saveexec_b32 s24, s1
	s_cbranch_execz .LBB29_39
; %bb.49:                               ;   in Loop: Header=BB29_40 Depth=2
	v_dual_mov_b32 v14, v27 :: v_dual_add_nc_u32 v15, 1, v14
	v_add_co_u32 v24, s1, v24, 4
	s_delay_alu instid0(VALU_DEP_1) | instskip(NEXT) | instid1(VALU_DEP_3)
	v_add_co_ci_u32_e64 v25, s1, 0, v25, s1
	v_cmp_ge_i32_e32 vcc_lo, v15, v27
	s_add_i32 s23, s23, s8
	s_or_not1_b32 s25, vcc_lo, exec_lo
	s_branch .LBB29_39
.LBB29_50:                              ;   in Loop: Header=BB29_40 Depth=2
	s_branch .LBB29_44
.LBB29_51:                              ;   in Loop: Header=BB29_22 Depth=1
	s_or_b32 exec_lo, exec_lo, s22
	v_mov_b32_e32 v14, v17
.LBB29_52:                              ;   in Loop: Header=BB29_22 Depth=1
	s_or_b32 exec_lo, exec_lo, s9
	s_waitcnt lgkmcnt(0)
	s_barrier
	buffer_gl0_inv
	ds_load_b32 v15, v29
	s_mov_b32 s1, exec_lo
	s_waitcnt lgkmcnt(0)
	v_cmpx_ne_u32_e32 0, v15
	s_cbranch_execz .LBB29_21
; %bb.53:                               ;   in Loop: Header=BB29_22 Depth=1
	v_ashrrev_i32_e32 v17, 31, v16
	v_add_nc_u32_e32 v15, s6, v35
	s_delay_alu instid0(VALU_DEP_2) | instskip(NEXT) | instid1(VALU_DEP_1)
	v_lshlrev_b64 v[22:23], 2, v[16:17]
	v_add_co_u32 v22, vcc_lo, s12, v22
	s_delay_alu instid0(VALU_DEP_2)
	v_add_co_ci_u32_e32 v23, vcc_lo, s13, v23, vcc_lo
	global_store_b32 v[22:23], v15, off
	s_and_b32 exec_lo, exec_lo, s0
	s_cbranch_execz .LBB29_21
; %bb.54:                               ;   in Loop: Header=BB29_22 Depth=1
	v_mad_u64_u32 v[22:23], null, v16, s11, v[20:21]
	s_delay_alu instid0(VALU_DEP_1) | instskip(SKIP_2) | instid1(VALU_DEP_1)
	v_mad_u64_u32 v[35:36], null, v22, s11, v[21:22]
	ds_load_2addr_b64 v[22:25], v33 offset1:1
	v_ashrrev_i32_e32 v36, 31, v35
	v_lshlrev_b64 v[35:36], 4, v[35:36]
	s_delay_alu instid0(VALU_DEP_1) | instskip(NEXT) | instid1(VALU_DEP_2)
	v_add_co_u32 v35, vcc_lo, s14, v35
	v_add_co_ci_u32_e32 v36, vcc_lo, s15, v36, vcc_lo
	s_waitcnt lgkmcnt(0)
	global_store_b128 v[35:36], v[22:25], off
	s_branch .LBB29_21
	.section	.rodata,"a",@progbits
	.p2align	6, 0x0
	.amdhsa_kernel _ZN9rocsparseL35bsrgeam_wf_per_row_multipass_kernelILj64ELj8E21rocsparse_complex_numIdEEEv20rocsparse_direction_iiiNS_24const_host_device_scalarIT1_EEPKiS8_PKS5_S6_S8_S8_SA_S8_PiPS5_21rocsparse_index_base_SD_SD_b
		.amdhsa_group_segment_fixed_size 2056
		.amdhsa_private_segment_fixed_size 0
		.amdhsa_kernarg_size 136
		.amdhsa_user_sgpr_count 15
		.amdhsa_user_sgpr_dispatch_ptr 1
		.amdhsa_user_sgpr_queue_ptr 0
		.amdhsa_user_sgpr_kernarg_segment_ptr 1
		.amdhsa_user_sgpr_dispatch_id 0
		.amdhsa_user_sgpr_private_segment_size 0
		.amdhsa_wavefront_size32 1
		.amdhsa_uses_dynamic_stack 0
		.amdhsa_enable_private_segment 0
		.amdhsa_system_sgpr_workgroup_id_x 1
		.amdhsa_system_sgpr_workgroup_id_y 0
		.amdhsa_system_sgpr_workgroup_id_z 0
		.amdhsa_system_sgpr_workgroup_info 0
		.amdhsa_system_vgpr_workitem_id 2
		.amdhsa_next_free_vgpr 44
		.amdhsa_next_free_sgpr 26
		.amdhsa_reserve_vcc 1
		.amdhsa_float_round_mode_32 0
		.amdhsa_float_round_mode_16_64 0
		.amdhsa_float_denorm_mode_32 3
		.amdhsa_float_denorm_mode_16_64 3
		.amdhsa_dx10_clamp 1
		.amdhsa_ieee_mode 1
		.amdhsa_fp16_overflow 0
		.amdhsa_workgroup_processor_mode 1
		.amdhsa_memory_ordered 1
		.amdhsa_forward_progress 0
		.amdhsa_shared_vgpr_count 0
		.amdhsa_exception_fp_ieee_invalid_op 0
		.amdhsa_exception_fp_denorm_src 0
		.amdhsa_exception_fp_ieee_div_zero 0
		.amdhsa_exception_fp_ieee_overflow 0
		.amdhsa_exception_fp_ieee_underflow 0
		.amdhsa_exception_fp_ieee_inexact 0
		.amdhsa_exception_int_div_zero 0
	.end_amdhsa_kernel
	.section	.text._ZN9rocsparseL35bsrgeam_wf_per_row_multipass_kernelILj64ELj8E21rocsparse_complex_numIdEEEv20rocsparse_direction_iiiNS_24const_host_device_scalarIT1_EEPKiS8_PKS5_S6_S8_S8_SA_S8_PiPS5_21rocsparse_index_base_SD_SD_b,"axG",@progbits,_ZN9rocsparseL35bsrgeam_wf_per_row_multipass_kernelILj64ELj8E21rocsparse_complex_numIdEEEv20rocsparse_direction_iiiNS_24const_host_device_scalarIT1_EEPKiS8_PKS5_S6_S8_S8_SA_S8_PiPS5_21rocsparse_index_base_SD_SD_b,comdat
.Lfunc_end29:
	.size	_ZN9rocsparseL35bsrgeam_wf_per_row_multipass_kernelILj64ELj8E21rocsparse_complex_numIdEEEv20rocsparse_direction_iiiNS_24const_host_device_scalarIT1_EEPKiS8_PKS5_S6_S8_S8_SA_S8_PiPS5_21rocsparse_index_base_SD_SD_b, .Lfunc_end29-_ZN9rocsparseL35bsrgeam_wf_per_row_multipass_kernelILj64ELj8E21rocsparse_complex_numIdEEEv20rocsparse_direction_iiiNS_24const_host_device_scalarIT1_EEPKiS8_PKS5_S6_S8_S8_SA_S8_PiPS5_21rocsparse_index_base_SD_SD_b
                                        ; -- End function
	.section	.AMDGPU.csdata,"",@progbits
; Kernel info:
; codeLenInByte = 2356
; NumSgprs: 28
; NumVgprs: 44
; ScratchSize: 0
; MemoryBound: 0
; FloatMode: 240
; IeeeMode: 1
; LDSByteSize: 2056 bytes/workgroup (compile time only)
; SGPRBlocks: 3
; VGPRBlocks: 5
; NumSGPRsForWavesPerEU: 28
; NumVGPRsForWavesPerEU: 44
; Occupancy: 16
; WaveLimiterHint : 0
; COMPUTE_PGM_RSRC2:SCRATCH_EN: 0
; COMPUTE_PGM_RSRC2:USER_SGPR: 15
; COMPUTE_PGM_RSRC2:TRAP_HANDLER: 0
; COMPUTE_PGM_RSRC2:TGID_X_EN: 1
; COMPUTE_PGM_RSRC2:TGID_Y_EN: 0
; COMPUTE_PGM_RSRC2:TGID_Z_EN: 0
; COMPUTE_PGM_RSRC2:TIDIG_COMP_CNT: 2
	.section	.text._ZN9rocsparseL39bsrgeam_block_per_row_multipass_kernel2ILj256ELj16E21rocsparse_complex_numIdEEEv20rocsparse_direction_iiiNS_24const_host_device_scalarIT1_EEPKiS8_PKS5_S6_S8_S8_SA_S8_PiPS5_21rocsparse_index_base_SD_SD_b,"axG",@progbits,_ZN9rocsparseL39bsrgeam_block_per_row_multipass_kernel2ILj256ELj16E21rocsparse_complex_numIdEEEv20rocsparse_direction_iiiNS_24const_host_device_scalarIT1_EEPKiS8_PKS5_S6_S8_S8_SA_S8_PiPS5_21rocsparse_index_base_SD_SD_b,comdat
	.globl	_ZN9rocsparseL39bsrgeam_block_per_row_multipass_kernel2ILj256ELj16E21rocsparse_complex_numIdEEEv20rocsparse_direction_iiiNS_24const_host_device_scalarIT1_EEPKiS8_PKS5_S6_S8_S8_SA_S8_PiPS5_21rocsparse_index_base_SD_SD_b ; -- Begin function _ZN9rocsparseL39bsrgeam_block_per_row_multipass_kernel2ILj256ELj16E21rocsparse_complex_numIdEEEv20rocsparse_direction_iiiNS_24const_host_device_scalarIT1_EEPKiS8_PKS5_S6_S8_S8_SA_S8_PiPS5_21rocsparse_index_base_SD_SD_b
	.p2align	8
	.type	_ZN9rocsparseL39bsrgeam_block_per_row_multipass_kernel2ILj256ELj16E21rocsparse_complex_numIdEEEv20rocsparse_direction_iiiNS_24const_host_device_scalarIT1_EEPKiS8_PKS5_S6_S8_S8_SA_S8_PiPS5_21rocsparse_index_base_SD_SD_b,@function
_ZN9rocsparseL39bsrgeam_block_per_row_multipass_kernel2ILj256ELj16E21rocsparse_complex_numIdEEEv20rocsparse_direction_iiiNS_24const_host_device_scalarIT1_EEPKiS8_PKS5_S6_S8_S8_SA_S8_PiPS5_21rocsparse_index_base_SD_SD_b: ; @_ZN9rocsparseL39bsrgeam_block_per_row_multipass_kernel2ILj256ELj16E21rocsparse_complex_numIdEEEv20rocsparse_direction_iiiNS_24const_host_device_scalarIT1_EEPKiS8_PKS5_S6_S8_S8_SA_S8_PiPS5_21rocsparse_index_base_SD_SD_b
; %bb.0:
	s_mov_b32 s16, s15
	s_clause 0x1
	s_load_b128 s[4:7], s[2:3], 0x78
	s_load_b128 s[12:15], s[2:3], 0x10
	s_load_b64 s[20:21], s[0:1], 0x4
	s_mov_b64 s[0:1], src_shared_base
	v_and_b32_e32 v1, 0x3ff, v0
	s_load_b64 s[18:19], s[2:3], 0x20
	v_bfe_u32 v3, v0, 10, 10
	v_bfe_u32 v0, v0, 20, 10
	s_load_b64 s[24:25], s[2:3], 0x60
	s_waitcnt lgkmcnt(0)
	s_bitcmp1_b32 s7, 0
	s_cselect_b32 s0, -1, 0
	s_delay_alu instid0(SALU_CYCLE_1)
	s_and_b32 vcc_lo, s0, exec_lo
	s_cselect_b32 s7, s1, s13
	s_lshr_b32 s8, s20, 16
	v_mov_b32_e32 v7, s7
	s_mul_i32 s8, s8, s21
	s_xor_b32 s7, s0, -1
	v_mul_lo_u32 v2, s8, v1
	s_load_b128 s[8:11], s[2:3], 0x38
	s_delay_alu instid0(VALU_DEP_1) | instskip(SKIP_1) | instid1(VALU_DEP_1)
	v_mad_u32_u24 v2, v3, s21, v2
	s_load_b64 s[20:21], s[2:3], 0x48
	v_add_lshl_u32 v0, v2, v0, 3
	v_dual_mov_b32 v2, s12 :: v_dual_mov_b32 v3, s13
	s_delay_alu instid0(VALU_DEP_2)
	v_add_nc_u32_e32 v6, 0x1808, v0
	v_add_nc_u32_e32 v8, 8, v0
	;; [unrolled: 1-line block ×3, first 2 shown]
	s_waitcnt lgkmcnt(0)
	v_dual_mov_b32 v4, s8 :: v_dual_mov_b32 v5, s9
	v_cndmask_b32_e64 v6, s12, v6, s0
	ds_store_2addr_stride64_b64 v8, v[4:5], v[2:3] offset0:8 offset1:12
	flat_load_b64 v[4:5], v[6:7]
	v_dual_mov_b32 v6, s14 :: v_dual_mov_b32 v7, s15
	s_cbranch_vccnz .LBB30_2
; %bb.1:
	v_dual_mov_b32 v2, s12 :: v_dual_mov_b32 v3, s13
	flat_load_b64 v[6:7], v[2:3] offset:8
.LBB30_2:
	s_and_b32 s12, s0, exec_lo
	s_cselect_b32 s1, s1, s9
	v_cndmask_b32_e64 v2, s8, v0, s0
	v_dual_mov_b32 v3, s1 :: v_dual_mov_b32 v10, s10
	s_load_b64 s[12:13], s[2:3], 0x28
	v_mov_b32_e32 v11, s11
	s_and_not1_b32 vcc_lo, exec_lo, s7
	flat_load_b64 v[8:9], v[2:3]
	s_cbranch_vccnz .LBB30_4
; %bb.3:
	v_dual_mov_b32 v2, s8 :: v_dual_mov_b32 v3, s9
	flat_load_b64 v[10:11], v[2:3] offset:8
.LBB30_4:
	s_ashr_i32 s17, s16, 31
	s_delay_alu instid0(SALU_CYCLE_1) | instskip(NEXT) | instid1(SALU_CYCLE_1)
	s_lshl_b64 s[8:9], s[16:17], 2
	s_add_u32 s0, s18, s8
	s_addc_u32 s1, s19, s9
	s_load_b64 s[0:1], s[0:1], 0x0
	s_load_b64 s[14:15], s[2:3], 0x8
	s_waitcnt lgkmcnt(0)
	s_sub_i32 s22, s0, s4
	s_add_u32 s10, s20, s8
	s_addc_u32 s11, s21, s9
	s_load_b64 s[16:17], s[2:3], 0x50
	s_load_b64 s[26:27], s[10:11], 0x0
	s_add_u32 s24, s24, s8
	s_addc_u32 s25, s25, s9
	s_cmp_ge_i32 s0, s1
	s_mov_b32 s0, s14
	s_cbranch_scc1 .LBB30_6
; %bb.5:
	s_ashr_i32 s23, s22, 31
	s_delay_alu instid0(SALU_CYCLE_1) | instskip(NEXT) | instid1(SALU_CYCLE_1)
	s_lshl_b64 s[8:9], s[22:23], 2
	s_add_u32 s8, s12, s8
	s_addc_u32 s9, s13, s9
	s_load_b32 s0, s[8:9], 0x0
	s_waitcnt lgkmcnt(0)
	s_sub_i32 s0, s0, s4
.LBB30_6:
	s_clause 0x2
	s_load_b128 s[8:11], s[2:3], 0x68
	s_load_b64 s[18:19], s[2:3], 0x58
	s_load_b64 s[20:21], s[2:3], 0x30
	s_load_b32 s23, s[24:25], 0x0
	s_waitcnt lgkmcnt(0)
	s_sub_i32 s24, s26, s5
	s_cmp_ge_i32 s26, s27
	s_mov_b32 s25, s14
	s_cbranch_scc1 .LBB30_8
; %bb.7:
	s_ashr_i32 s25, s24, 31
	s_delay_alu instid0(SALU_CYCLE_1) | instskip(NEXT) | instid1(SALU_CYCLE_1)
	s_lshl_b64 s[28:29], s[24:25], 2
	s_add_u32 s28, s16, s28
	s_addc_u32 s29, s17, s29
	s_load_b32 s7, s[28:29], 0x0
	s_waitcnt lgkmcnt(0)
	s_sub_i32 s25, s7, s5
.LBB30_8:
	s_load_b32 s3, s[2:3], 0x0
	v_dual_mov_b32 v17, s22 :: v_dual_and_b32 v12, 15, v1
	v_lshrrev_b32_e32 v13, 4, v1
	s_sub_i32 s2, s23, s6
	s_min_i32 s23, s25, s0
	s_delay_alu instid0(VALU_DEP_2)
	v_cmp_gt_u32_e32 vcc_lo, s15, v12
	v_dual_mov_b32 v29, s23 :: v_dual_and_b32 v0, 0xf0, v1
	v_cmp_gt_i32_e64 s0, s15, v13
	s_sub_i32 s1, s1, s4
	s_sub_i32 s7, s27, s5
	v_dual_mov_b32 v14, s24 :: v_dual_lshlrev_b32 v25, 4, v1
	s_delay_alu instid0(VALU_DEP_2)
	s_and_b32 s22, vcc_lo, s0
	v_lshl_or_b32 v26, v12, 8, v0
	s_mov_b32 s23, 0
	s_mul_i32 s25, s15, s15
	v_mov_b32_e32 v28, 1
	s_waitcnt lgkmcnt(0)
	s_cmp_eq_u32 s3, 0
	s_cselect_b32 vcc_lo, -1, 0
	v_dual_mov_b32 v16, 0 :: v_dual_cndmask_b32 v19, v12, v13
	v_dual_cndmask_b32 v20, v13, v12 :: v_dual_cndmask_b32 v27, v26, v25
	s_cmp_lg_u32 s3, 0
	s_delay_alu instid0(VALU_DEP_2)
	v_mov_b32_e32 v0, v16
	v_mov_b32_e32 v1, v16
	;; [unrolled: 1-line block ×4, first 2 shown]
	s_cselect_b32 s24, -1, 0
	s_branch .LBB30_11
.LBB30_9:                               ;   in Loop: Header=BB30_11 Depth=1
	s_or_b32 exec_lo, exec_lo, s0
.LBB30_10:                              ;   in Loop: Header=BB30_11 Depth=1
	s_waitcnt_vscnt null, 0x0
	s_barrier
	buffer_gl0_inv
	ds_load_b32 v15, v16 offset:4096
	v_cmp_le_i32_e32 vcc_lo, s14, v18
	v_mov_b32_e32 v29, v18
	s_waitcnt lgkmcnt(0)
	s_barrier
	buffer_gl0_inv
	v_readfirstlane_b32 s0, v15
	s_delay_alu instid0(VALU_DEP_1) | instskip(SKIP_1) | instid1(SALU_CYCLE_1)
	s_add_i32 s2, s0, s2
	s_or_b32 s23, vcc_lo, s23
	s_and_not1_b32 exec_lo, exec_lo, s23
	s_cbranch_execz .LBB30_44
.LBB30_11:                              ; =>This Loop Header: Depth=1
                                        ;     Child Loop BB30_14 Depth 2
                                        ;     Child Loop BB30_29 Depth 2
	v_mov_b32_e32 v18, s14
	s_mov_b32 s3, exec_lo
	ds_store_b32 v16, v16 offset:4096
	ds_store_b128 v25, v[0:3]
	s_waitcnt vmcnt(0) lgkmcnt(0)
	s_barrier
	buffer_gl0_inv
	v_cmpx_gt_i32_e64 s1, v17
	s_cbranch_execz .LBB30_26
; %bb.12:                               ;   in Loop: Header=BB30_11 Depth=1
	v_mul_lo_u32 v15, s15, v17
	v_ashrrev_i32_e32 v18, 31, v17
	s_mov_b32 s26, 0
	s_mov_b32 s27, 0
	s_delay_alu instid0(VALU_DEP_1) | instskip(NEXT) | instid1(VALU_DEP_3)
	v_lshlrev_b64 v[30:31], 2, v[17:18]
	v_dual_mov_b32 v18, s14 :: v_dual_add_nc_u32 v23, v13, v15
	v_add_nc_u32_e32 v15, v12, v15
	s_delay_alu instid0(VALU_DEP_2) | instskip(NEXT) | instid1(VALU_DEP_2)
	v_mad_u64_u32 v[21:22], null, s15, v23, v[12:13]
	v_mad_u64_u32 v[22:23], null, s15, v15, v[13:14]
	v_add_co_u32 v23, vcc_lo, s12, v30
	v_add_co_ci_u32_e32 v24, vcc_lo, s13, v31, vcc_lo
	s_branch .LBB30_14
.LBB30_13:                              ;   in Loop: Header=BB30_14 Depth=2
	s_or_b32 exec_lo, exec_lo, s29
	s_delay_alu instid0(SALU_CYCLE_1) | instskip(NEXT) | instid1(SALU_CYCLE_1)
	s_and_b32 s0, exec_lo, s28
	s_or_b32 s26, s0, s26
	s_delay_alu instid0(SALU_CYCLE_1)
	s_and_not1_b32 exec_lo, exec_lo, s26
	s_cbranch_execz .LBB30_25
.LBB30_14:                              ;   Parent Loop BB30_11 Depth=1
                                        ; =>  This Inner Loop Header: Depth=2
	global_load_b32 v15, v[23:24], off
	s_mov_b32 s28, exec_lo
	s_waitcnt vmcnt(0)
	v_subrev_nc_u32_e32 v15, s4, v15
	s_delay_alu instid0(VALU_DEP_1)
	v_cmp_eq_u32_e64 s0, v15, v29
	v_cmpx_ne_u32_e64 v15, v29
	s_xor_b32 s28, exec_lo, s28
	s_cbranch_execnz .LBB30_17
; %bb.15:                               ;   in Loop: Header=BB30_14 Depth=2
	s_and_not1_saveexec_b32 s28, s28
	s_cbranch_execnz .LBB30_18
.LBB30_16:                              ;   in Loop: Header=BB30_14 Depth=2
	s_or_b32 exec_lo, exec_lo, s28
	s_mov_b32 s28, -1
	s_and_saveexec_b32 s29, s0
	s_cbranch_execz .LBB30_13
	s_branch .LBB30_24
.LBB30_17:                              ;   in Loop: Header=BB30_14 Depth=2
	v_min_i32_e32 v18, v15, v18
	s_and_not1_saveexec_b32 s28, s28
	s_cbranch_execz .LBB30_16
.LBB30_18:                              ;   in Loop: Header=BB30_14 Depth=2
	ds_store_b32 v16, v28 offset:4096
	s_and_saveexec_b32 s29, s22
	s_cbranch_execz .LBB30_23
; %bb.19:                               ;   in Loop: Header=BB30_14 Depth=2
	s_and_b32 vcc_lo, exec_lo, s24
	s_cbranch_vccz .LBB30_21
; %bb.20:                               ;   in Loop: Header=BB30_14 Depth=2
	v_add_nc_u32_e32 v15, s27, v22
	s_delay_alu instid0(VALU_DEP_1) | instskip(NEXT) | instid1(VALU_DEP_1)
	v_lshlrev_b64 v[30:31], 4, v[15:16]
	v_add_co_u32 v30, vcc_lo, s20, v30
	s_delay_alu instid0(VALU_DEP_2) | instskip(SKIP_4) | instid1(VALU_DEP_2)
	v_add_co_ci_u32_e32 v31, vcc_lo, s21, v31, vcc_lo
	global_load_b128 v[30:33], v[30:31], off
	s_waitcnt vmcnt(0)
	v_mul_f64 v[34:35], v[32:33], -v[6:7]
	v_mul_f64 v[36:37], v[4:5], v[32:33]
	v_fma_f64 v[32:33], v[4:5], v[30:31], v[34:35]
	s_delay_alu instid0(VALU_DEP_2)
	v_fma_f64 v[34:35], v[6:7], v[30:31], v[36:37]
	ds_store_b128 v26, v[32:35]
	s_cbranch_execz .LBB30_22
	s_branch .LBB30_23
.LBB30_21:                              ;   in Loop: Header=BB30_14 Depth=2
.LBB30_22:                              ;   in Loop: Header=BB30_14 Depth=2
	v_add_nc_u32_e32 v15, s27, v21
	s_delay_alu instid0(VALU_DEP_1) | instskip(NEXT) | instid1(VALU_DEP_1)
	v_lshlrev_b64 v[30:31], 4, v[15:16]
	v_add_co_u32 v30, vcc_lo, s20, v30
	s_delay_alu instid0(VALU_DEP_2) | instskip(SKIP_4) | instid1(VALU_DEP_2)
	v_add_co_ci_u32_e32 v31, vcc_lo, s21, v31, vcc_lo
	global_load_b128 v[30:33], v[30:31], off
	s_waitcnt vmcnt(0)
	v_mul_f64 v[34:35], v[32:33], -v[6:7]
	v_mul_f64 v[36:37], v[4:5], v[32:33]
	v_fma_f64 v[32:33], v[4:5], v[30:31], v[34:35]
	s_delay_alu instid0(VALU_DEP_2)
	v_fma_f64 v[34:35], v[6:7], v[30:31], v[36:37]
	ds_store_b128 v25, v[32:35]
.LBB30_23:                              ;   in Loop: Header=BB30_14 Depth=2
	s_or_b32 exec_lo, exec_lo, s29
	s_delay_alu instid0(SALU_CYCLE_1)
	s_or_b32 exec_lo, exec_lo, s28
	s_mov_b32 s28, -1
	s_and_saveexec_b32 s29, s0
	s_cbranch_execz .LBB30_13
.LBB30_24:                              ;   in Loop: Header=BB30_14 Depth=2
	v_add_nc_u32_e32 v17, 1, v17
	v_add_co_u32 v23, s0, v23, 4
	s_delay_alu instid0(VALU_DEP_1) | instskip(NEXT) | instid1(VALU_DEP_3)
	v_add_co_ci_u32_e64 v24, s0, 0, v24, s0
	v_cmp_le_i32_e32 vcc_lo, s1, v17
	s_add_i32 s27, s27, s25
	s_or_not1_b32 s28, vcc_lo, exec_lo
	s_branch .LBB30_13
.LBB30_25:                              ;   in Loop: Header=BB30_11 Depth=1
	s_or_b32 exec_lo, exec_lo, s26
.LBB30_26:                              ;   in Loop: Header=BB30_11 Depth=1
	s_delay_alu instid0(SALU_CYCLE_1) | instskip(NEXT) | instid1(SALU_CYCLE_1)
	s_or_b32 exec_lo, exec_lo, s3
	s_mov_b32 s3, exec_lo
	s_waitcnt lgkmcnt(0)
	s_barrier
	buffer_gl0_inv
	v_cmpx_gt_i32_e64 s7, v14
	s_cbranch_execz .LBB30_41
; %bb.27:                               ;   in Loop: Header=BB30_11 Depth=1
	v_mul_lo_u32 v21, s15, v14
	v_ashrrev_i32_e32 v15, 31, v14
	s_mov_b32 s26, 0
	s_mov_b32 s27, 0
	s_delay_alu instid0(VALU_DEP_1) | instskip(NEXT) | instid1(VALU_DEP_3)
	v_lshlrev_b64 v[30:31], 2, v[14:15]
	v_add_nc_u32_e32 v23, v13, v21
	v_add_nc_u32_e32 v24, v12, v21
	s_delay_alu instid0(VALU_DEP_2) | instskip(NEXT) | instid1(VALU_DEP_2)
	v_mad_u64_u32 v[21:22], null, s15, v23, v[12:13]
	v_mad_u64_u32 v[22:23], null, s15, v24, v[13:14]
	v_add_co_u32 v23, vcc_lo, s16, v30
	v_add_co_ci_u32_e32 v24, vcc_lo, s17, v31, vcc_lo
	s_branch .LBB30_29
.LBB30_28:                              ;   in Loop: Header=BB30_29 Depth=2
	s_or_b32 exec_lo, exec_lo, s29
	s_delay_alu instid0(SALU_CYCLE_1) | instskip(NEXT) | instid1(SALU_CYCLE_1)
	s_and_b32 s0, exec_lo, s28
	s_or_b32 s26, s0, s26
	s_delay_alu instid0(SALU_CYCLE_1)
	s_and_not1_b32 exec_lo, exec_lo, s26
	s_cbranch_execz .LBB30_40
.LBB30_29:                              ;   Parent Loop BB30_11 Depth=1
                                        ; =>  This Inner Loop Header: Depth=2
	global_load_b32 v15, v[23:24], off
	s_mov_b32 s28, exec_lo
	s_waitcnt vmcnt(0)
	v_subrev_nc_u32_e32 v15, s5, v15
	s_delay_alu instid0(VALU_DEP_1)
	v_cmp_eq_u32_e64 s0, v15, v29
	v_cmpx_ne_u32_e64 v15, v29
	s_xor_b32 s28, exec_lo, s28
	s_cbranch_execnz .LBB30_32
; %bb.30:                               ;   in Loop: Header=BB30_29 Depth=2
	s_and_not1_saveexec_b32 s28, s28
	s_cbranch_execnz .LBB30_33
.LBB30_31:                              ;   in Loop: Header=BB30_29 Depth=2
	s_or_b32 exec_lo, exec_lo, s28
	s_mov_b32 s28, -1
	s_and_saveexec_b32 s29, s0
	s_cbranch_execz .LBB30_28
	s_branch .LBB30_39
.LBB30_32:                              ;   in Loop: Header=BB30_29 Depth=2
	v_min_i32_e32 v18, v15, v18
	s_and_not1_saveexec_b32 s28, s28
	s_cbranch_execz .LBB30_31
.LBB30_33:                              ;   in Loop: Header=BB30_29 Depth=2
	ds_store_b32 v16, v28 offset:4096
	s_and_saveexec_b32 s29, s22
	s_cbranch_execz .LBB30_38
; %bb.34:                               ;   in Loop: Header=BB30_29 Depth=2
	s_and_b32 vcc_lo, exec_lo, s24
	s_cbranch_vccz .LBB30_36
; %bb.35:                               ;   in Loop: Header=BB30_29 Depth=2
	v_add_nc_u32_e32 v15, s27, v22
	ds_load_b128 v[34:37], v26
	v_lshlrev_b64 v[30:31], 4, v[15:16]
	s_delay_alu instid0(VALU_DEP_1) | instskip(NEXT) | instid1(VALU_DEP_2)
	v_add_co_u32 v30, vcc_lo, s18, v30
	v_add_co_ci_u32_e32 v31, vcc_lo, s19, v31, vcc_lo
	global_load_b128 v[30:33], v[30:31], off
	s_waitcnt vmcnt(0) lgkmcnt(0)
	v_fma_f64 v[34:35], v[8:9], v[30:31], v[34:35]
	v_fma_f64 v[36:37], v[10:11], v[30:31], v[36:37]
	s_delay_alu instid0(VALU_DEP_2) | instskip(NEXT) | instid1(VALU_DEP_2)
	v_fma_f64 v[30:31], -v[10:11], v[32:33], v[34:35]
	v_fma_f64 v[32:33], v[8:9], v[32:33], v[36:37]
	ds_store_b128 v26, v[30:33]
	s_cbranch_execz .LBB30_37
	s_branch .LBB30_38
.LBB30_36:                              ;   in Loop: Header=BB30_29 Depth=2
.LBB30_37:                              ;   in Loop: Header=BB30_29 Depth=2
	v_add_nc_u32_e32 v15, s27, v21
	ds_load_b128 v[34:37], v25
	v_lshlrev_b64 v[30:31], 4, v[15:16]
	s_delay_alu instid0(VALU_DEP_1) | instskip(NEXT) | instid1(VALU_DEP_2)
	v_add_co_u32 v30, vcc_lo, s18, v30
	v_add_co_ci_u32_e32 v31, vcc_lo, s19, v31, vcc_lo
	global_load_b128 v[30:33], v[30:31], off
	s_waitcnt vmcnt(0) lgkmcnt(0)
	v_fma_f64 v[34:35], v[8:9], v[30:31], v[34:35]
	v_fma_f64 v[36:37], v[10:11], v[30:31], v[36:37]
	s_delay_alu instid0(VALU_DEP_2) | instskip(NEXT) | instid1(VALU_DEP_2)
	v_fma_f64 v[30:31], -v[10:11], v[32:33], v[34:35]
	v_fma_f64 v[32:33], v[8:9], v[32:33], v[36:37]
	ds_store_b128 v25, v[30:33]
.LBB30_38:                              ;   in Loop: Header=BB30_29 Depth=2
	s_or_b32 exec_lo, exec_lo, s29
	s_delay_alu instid0(SALU_CYCLE_1)
	s_or_b32 exec_lo, exec_lo, s28
	s_mov_b32 s28, -1
	s_and_saveexec_b32 s29, s0
	s_cbranch_execz .LBB30_28
.LBB30_39:                              ;   in Loop: Header=BB30_29 Depth=2
	v_add_nc_u32_e32 v14, 1, v14
	v_add_co_u32 v23, s0, v23, 4
	s_delay_alu instid0(VALU_DEP_1) | instskip(NEXT) | instid1(VALU_DEP_3)
	v_add_co_ci_u32_e64 v24, s0, 0, v24, s0
	v_cmp_le_i32_e32 vcc_lo, s7, v14
	s_add_i32 s27, s27, s25
	s_or_not1_b32 s28, vcc_lo, exec_lo
	s_branch .LBB30_28
.LBB30_40:                              ;   in Loop: Header=BB30_11 Depth=1
	s_or_b32 exec_lo, exec_lo, s26
.LBB30_41:                              ;   in Loop: Header=BB30_11 Depth=1
	s_delay_alu instid0(SALU_CYCLE_1)
	s_or_b32 exec_lo, exec_lo, s3
	s_waitcnt lgkmcnt(0)
	s_barrier
	buffer_gl0_inv
	ds_load_b32 v15, v16 offset:4096
	s_waitcnt lgkmcnt(0)
	v_cmp_eq_u32_e32 vcc_lo, 0, v15
	s_cbranch_vccnz .LBB30_10
; %bb.42:                               ;   in Loop: Header=BB30_11 Depth=1
	s_ashr_i32 s3, s2, 31
	v_add_nc_u32_e32 v15, s6, v29
	s_lshl_b64 s[26:27], s[2:3], 2
	s_delay_alu instid0(SALU_CYCLE_1)
	s_add_u32 s26, s8, s26
	s_addc_u32 s27, s9, s27
	global_store_b32 v16, v15, s[26:27]
	s_and_saveexec_b32 s0, s22
	s_cbranch_execz .LBB30_9
; %bb.43:                               ;   in Loop: Header=BB30_11 Depth=1
	v_mad_u64_u32 v[21:22], null, s2, s15, v[19:20]
	s_delay_alu instid0(VALU_DEP_1) | instskip(SKIP_2) | instid1(VALU_DEP_1)
	v_mad_u64_u32 v[29:30], null, v21, s15, v[20:21]
	ds_load_2addr_b64 v[21:24], v27 offset1:1
	v_mov_b32_e32 v30, v16
	v_lshlrev_b64 v[29:30], 4, v[29:30]
	s_delay_alu instid0(VALU_DEP_1) | instskip(NEXT) | instid1(VALU_DEP_2)
	v_add_co_u32 v29, vcc_lo, s10, v29
	v_add_co_ci_u32_e32 v30, vcc_lo, s11, v30, vcc_lo
	s_waitcnt lgkmcnt(0)
	global_store_b128 v[29:30], v[21:24], off
	s_branch .LBB30_9
.LBB30_44:
	s_endpgm
	.section	.rodata,"a",@progbits
	.p2align	6, 0x0
	.amdhsa_kernel _ZN9rocsparseL39bsrgeam_block_per_row_multipass_kernel2ILj256ELj16E21rocsparse_complex_numIdEEEv20rocsparse_direction_iiiNS_24const_host_device_scalarIT1_EEPKiS8_PKS5_S6_S8_S8_SA_S8_PiPS5_21rocsparse_index_base_SD_SD_b
		.amdhsa_group_segment_fixed_size 8200
		.amdhsa_private_segment_fixed_size 0
		.amdhsa_kernarg_size 136
		.amdhsa_user_sgpr_count 15
		.amdhsa_user_sgpr_dispatch_ptr 1
		.amdhsa_user_sgpr_queue_ptr 0
		.amdhsa_user_sgpr_kernarg_segment_ptr 1
		.amdhsa_user_sgpr_dispatch_id 0
		.amdhsa_user_sgpr_private_segment_size 0
		.amdhsa_wavefront_size32 1
		.amdhsa_uses_dynamic_stack 0
		.amdhsa_enable_private_segment 0
		.amdhsa_system_sgpr_workgroup_id_x 1
		.amdhsa_system_sgpr_workgroup_id_y 0
		.amdhsa_system_sgpr_workgroup_id_z 0
		.amdhsa_system_sgpr_workgroup_info 0
		.amdhsa_system_vgpr_workitem_id 2
		.amdhsa_next_free_vgpr 38
		.amdhsa_next_free_sgpr 30
		.amdhsa_reserve_vcc 1
		.amdhsa_float_round_mode_32 0
		.amdhsa_float_round_mode_16_64 0
		.amdhsa_float_denorm_mode_32 3
		.amdhsa_float_denorm_mode_16_64 3
		.amdhsa_dx10_clamp 1
		.amdhsa_ieee_mode 1
		.amdhsa_fp16_overflow 0
		.amdhsa_workgroup_processor_mode 1
		.amdhsa_memory_ordered 1
		.amdhsa_forward_progress 0
		.amdhsa_shared_vgpr_count 0
		.amdhsa_exception_fp_ieee_invalid_op 0
		.amdhsa_exception_fp_denorm_src 0
		.amdhsa_exception_fp_ieee_div_zero 0
		.amdhsa_exception_fp_ieee_overflow 0
		.amdhsa_exception_fp_ieee_underflow 0
		.amdhsa_exception_fp_ieee_inexact 0
		.amdhsa_exception_int_div_zero 0
	.end_amdhsa_kernel
	.section	.text._ZN9rocsparseL39bsrgeam_block_per_row_multipass_kernel2ILj256ELj16E21rocsparse_complex_numIdEEEv20rocsparse_direction_iiiNS_24const_host_device_scalarIT1_EEPKiS8_PKS5_S6_S8_S8_SA_S8_PiPS5_21rocsparse_index_base_SD_SD_b,"axG",@progbits,_ZN9rocsparseL39bsrgeam_block_per_row_multipass_kernel2ILj256ELj16E21rocsparse_complex_numIdEEEv20rocsparse_direction_iiiNS_24const_host_device_scalarIT1_EEPKiS8_PKS5_S6_S8_S8_SA_S8_PiPS5_21rocsparse_index_base_SD_SD_b,comdat
.Lfunc_end30:
	.size	_ZN9rocsparseL39bsrgeam_block_per_row_multipass_kernel2ILj256ELj16E21rocsparse_complex_numIdEEEv20rocsparse_direction_iiiNS_24const_host_device_scalarIT1_EEPKiS8_PKS5_S6_S8_S8_SA_S8_PiPS5_21rocsparse_index_base_SD_SD_b, .Lfunc_end30-_ZN9rocsparseL39bsrgeam_block_per_row_multipass_kernel2ILj256ELj16E21rocsparse_complex_numIdEEEv20rocsparse_direction_iiiNS_24const_host_device_scalarIT1_EEPKiS8_PKS5_S6_S8_S8_SA_S8_PiPS5_21rocsparse_index_base_SD_SD_b
                                        ; -- End function
	.section	.AMDGPU.csdata,"",@progbits
; Kernel info:
; codeLenInByte = 1976
; NumSgprs: 32
; NumVgprs: 38
; ScratchSize: 0
; MemoryBound: 0
; FloatMode: 240
; IeeeMode: 1
; LDSByteSize: 8200 bytes/workgroup (compile time only)
; SGPRBlocks: 3
; VGPRBlocks: 4
; NumSGPRsForWavesPerEU: 32
; NumVGPRsForWavesPerEU: 38
; Occupancy: 16
; WaveLimiterHint : 1
; COMPUTE_PGM_RSRC2:SCRATCH_EN: 0
; COMPUTE_PGM_RSRC2:USER_SGPR: 15
; COMPUTE_PGM_RSRC2:TRAP_HANDLER: 0
; COMPUTE_PGM_RSRC2:TGID_X_EN: 1
; COMPUTE_PGM_RSRC2:TGID_Y_EN: 0
; COMPUTE_PGM_RSRC2:TGID_Z_EN: 0
; COMPUTE_PGM_RSRC2:TIDIG_COMP_CNT: 2
	.section	.text._ZN9rocsparseL39bsrgeam_block_per_row_multipass_kernel2ILj256ELj32E21rocsparse_complex_numIdEEEv20rocsparse_direction_iiiNS_24const_host_device_scalarIT1_EEPKiS8_PKS5_S6_S8_S8_SA_S8_PiPS5_21rocsparse_index_base_SD_SD_b,"axG",@progbits,_ZN9rocsparseL39bsrgeam_block_per_row_multipass_kernel2ILj256ELj32E21rocsparse_complex_numIdEEEv20rocsparse_direction_iiiNS_24const_host_device_scalarIT1_EEPKiS8_PKS5_S6_S8_S8_SA_S8_PiPS5_21rocsparse_index_base_SD_SD_b,comdat
	.globl	_ZN9rocsparseL39bsrgeam_block_per_row_multipass_kernel2ILj256ELj32E21rocsparse_complex_numIdEEEv20rocsparse_direction_iiiNS_24const_host_device_scalarIT1_EEPKiS8_PKS5_S6_S8_S8_SA_S8_PiPS5_21rocsparse_index_base_SD_SD_b ; -- Begin function _ZN9rocsparseL39bsrgeam_block_per_row_multipass_kernel2ILj256ELj32E21rocsparse_complex_numIdEEEv20rocsparse_direction_iiiNS_24const_host_device_scalarIT1_EEPKiS8_PKS5_S6_S8_S8_SA_S8_PiPS5_21rocsparse_index_base_SD_SD_b
	.p2align	8
	.type	_ZN9rocsparseL39bsrgeam_block_per_row_multipass_kernel2ILj256ELj32E21rocsparse_complex_numIdEEEv20rocsparse_direction_iiiNS_24const_host_device_scalarIT1_EEPKiS8_PKS5_S6_S8_S8_SA_S8_PiPS5_21rocsparse_index_base_SD_SD_b,@function
_ZN9rocsparseL39bsrgeam_block_per_row_multipass_kernel2ILj256ELj32E21rocsparse_complex_numIdEEEv20rocsparse_direction_iiiNS_24const_host_device_scalarIT1_EEPKiS8_PKS5_S6_S8_S8_SA_S8_PiPS5_21rocsparse_index_base_SD_SD_b: ; @_ZN9rocsparseL39bsrgeam_block_per_row_multipass_kernel2ILj256ELj32E21rocsparse_complex_numIdEEEv20rocsparse_direction_iiiNS_24const_host_device_scalarIT1_EEPKiS8_PKS5_S6_S8_S8_SA_S8_PiPS5_21rocsparse_index_base_SD_SD_b
; %bb.0:
	s_mov_b32 s16, s15
	s_clause 0x1
	s_load_b128 s[4:7], s[2:3], 0x78
	s_load_b128 s[12:15], s[2:3], 0x10
	s_load_b64 s[20:21], s[0:1], 0x4
	s_mov_b64 s[0:1], src_shared_base
	v_and_b32_e32 v1, 0x3ff, v0
	s_clause 0x1
	s_load_b64 s[18:19], s[2:3], 0x20
	s_load_b128 s[8:11], s[2:3], 0x38
	v_bfe_u32 v3, v0, 10, 10
	v_bfe_u32 v0, v0, 20, 10
	s_load_b64 s[22:23], s[2:3], 0x60
	s_waitcnt lgkmcnt(0)
	s_bitcmp1_b32 s7, 0
	s_cselect_b32 s0, -1, 0
	s_delay_alu instid0(SALU_CYCLE_1)
	s_and_b32 vcc_lo, s0, exec_lo
	s_cselect_b32 s1, s1, s13
	s_lshr_b32 s7, s20, 16
	v_dual_mov_b32 v4, s8 :: v_dual_mov_b32 v5, s9
	s_mul_i32 s7, s7, s21
	v_mov_b32_e32 v7, s1
	v_mul_lo_u32 v2, s7, v1
	s_xor_b32 s1, s0, -1
	scratch_store_b64 off, v[4:5], off
	v_mad_u32_u24 v2, v3, s21, v2
	s_load_b64 s[20:21], s[2:3], 0x48
	s_delay_alu instid0(VALU_DEP_1) | instskip(SKIP_1) | instid1(VALU_DEP_2)
	v_add_lshl_u32 v0, v2, v0, 3
	v_dual_mov_b32 v2, s12 :: v_dual_mov_b32 v3, s13
	v_add_nc_u32_e32 v6, 0x4008, v0
	ds_store_b64 v0, v[2:3] offset:16392
	v_cndmask_b32_e64 v6, s12, v6, s0
	flat_load_b64 v[4:5], v[6:7]
	v_dual_mov_b32 v6, s14 :: v_dual_mov_b32 v7, s15
	s_cbranch_vccnz .LBB31_2
; %bb.1:
	v_dual_mov_b32 v2, s12 :: v_dual_mov_b32 v3, s13
	flat_load_b64 v[6:7], v[2:3] offset:8
.LBB31_2:
	s_mov_b64 s[12:13], src_private_base
	s_and_b32 s7, s0, exec_lo
	s_cselect_b32 s7, s13, s9
	s_delay_alu instid0(SALU_CYCLE_1) | instskip(SKIP_2) | instid1(VALU_DEP_2)
	v_dual_mov_b32 v0, 0 :: v_dual_mov_b32 v3, s7
	s_load_b64 s[12:13], s[2:3], 0x28
	v_dual_mov_b32 v10, s10 :: v_dual_mov_b32 v11, s11
	v_cndmask_b32_e64 v2, s8, v0, s0
	s_and_not1_b32 vcc_lo, exec_lo, s1
	flat_load_b64 v[8:9], v[2:3]
	s_cbranch_vccnz .LBB31_4
; %bb.3:
	v_dual_mov_b32 v2, s8 :: v_dual_mov_b32 v3, s9
	flat_load_b64 v[10:11], v[2:3] offset:8
.LBB31_4:
	s_ashr_i32 s17, s16, 31
	s_delay_alu instid0(SALU_CYCLE_1) | instskip(NEXT) | instid1(SALU_CYCLE_1)
	s_lshl_b64 s[8:9], s[16:17], 2
	s_add_u32 s0, s18, s8
	s_addc_u32 s1, s19, s9
	s_load_b64 s[0:1], s[0:1], 0x0
	s_load_b64 s[14:15], s[2:3], 0x8
	s_waitcnt lgkmcnt(0)
	s_sub_i32 s16, s0, s4
	s_add_u32 s10, s20, s8
	s_addc_u32 s11, s21, s9
	s_load_b64 s[18:19], s[2:3], 0x50
	s_load_b64 s[26:27], s[10:11], 0x0
	s_add_u32 s24, s22, s8
	s_addc_u32 s25, s23, s9
	s_cmp_ge_i32 s0, s1
	s_mov_b32 s0, s14
	s_cbranch_scc1 .LBB31_6
; %bb.5:
	s_ashr_i32 s17, s16, 31
	s_delay_alu instid0(SALU_CYCLE_1) | instskip(NEXT) | instid1(SALU_CYCLE_1)
	s_lshl_b64 s[8:9], s[16:17], 2
	s_add_u32 s8, s12, s8
	s_addc_u32 s9, s13, s9
	s_load_b32 s0, s[8:9], 0x0
	s_waitcnt lgkmcnt(0)
	s_sub_i32 s0, s0, s4
.LBB31_6:
	s_clause 0x2
	s_load_b128 s[8:11], s[2:3], 0x68
	s_load_b64 s[20:21], s[2:3], 0x58
	s_load_b64 s[22:23], s[2:3], 0x30
	s_load_b32 s17, s[24:25], 0x0
	s_waitcnt lgkmcnt(0)
	s_sub_i32 s24, s26, s5
	s_cmp_ge_i32 s26, s27
	s_mov_b32 s25, s14
	s_cbranch_scc1 .LBB31_8
; %bb.7:
	s_ashr_i32 s25, s24, 31
	s_delay_alu instid0(SALU_CYCLE_1) | instskip(NEXT) | instid1(SALU_CYCLE_1)
	s_lshl_b64 s[28:29], s[24:25], 2
	s_add_u32 s28, s18, s28
	s_addc_u32 s29, s19, s29
	s_load_b32 s7, s[28:29], 0x0
	s_waitcnt lgkmcnt(0)
	s_sub_i32 s25, s7, s5
.LBB31_8:
	s_load_b32 s28, s[2:3], 0x0
	v_dual_mov_b32 v14, 0 :: v_dual_and_b32 v15, 7, v1
	v_lshrrev_b32_e32 v12, 3, v1
	s_mov_b32 s36, 0
	s_sub_i32 s7, s1, s4
	s_delay_alu instid0(VALU_DEP_2)
	v_or_b32_e32 v16, 8, v15
	s_mov_b32 s37, s36
	s_mov_b32 s38, s36
	;; [unrolled: 1-line block ×3, first 2 shown]
	v_lshlrev_b32_e32 v0, 5, v12
	s_min_i32 s3, s25, s0
	v_cmp_gt_i32_e32 vcc_lo, s15, v12
	v_cmp_gt_u32_e64 s0, s15, v15
	v_or_b32_e32 v18, 16, v15
	v_or_b32_e32 v20, 24, v15
	v_cmp_gt_u32_e64 s1, s15, v16
	s_sub_i32 s26, s27, s5
	s_sub_i32 s2, s17, s6
	v_or_b32_e32 v19, v0, v15
	s_waitcnt lgkmcnt(0)
	s_cmp_lg_u32 s28, 0
	v_or_b32_e32 v23, v16, v0
	s_cselect_b32 s27, -1, 0
	s_and_b32 s28, vcc_lo, s0
	s_and_b32 s29, vcc_lo, s1
	v_cmp_gt_u32_e64 s0, s15, v18
	v_cmp_gt_u32_e64 s1, s15, v20
	v_or_b32_e32 v25, v18, v0
	v_or_b32_e32 v27, v20, v0
	v_dual_mov_b32 v0, s36 :: v_dual_mov_b32 v1, s37
	v_lshl_or_b32 v17, v15, 5, v12
	v_lshl_or_b32 v21, v16, 5, v12
	v_dual_mov_b32 v3, s39 :: v_dual_lshlrev_b32 v22, 4, v19
	v_lshl_or_b32 v24, v18, 5, v12
	v_lshl_or_b32 v26, v20, 5, v12
	v_mov_b32_e32 v2, s38
	v_mov_b32_e32 v28, 1
	s_and_b32 s30, vcc_lo, s0
	s_and_b32 s31, vcc_lo, s1
	s_mul_i32 s33, s15, s15
	s_branch .LBB31_12
.LBB31_9:                               ;   in Loop: Header=BB31_12 Depth=1
	s_delay_alu instid0(VALU_DEP_1) | instskip(NEXT) | instid1(VALU_DEP_2)
	v_lshlrev_b32_e32 v29, 4, v30
	v_lshlrev_b64 v[33:34], 4, v[13:14]
	ds_load_2addr_b64 v[29:32], v29 offset1:1
	v_add_co_u32 v33, vcc_lo, s10, v33
	v_add_co_ci_u32_e32 v34, vcc_lo, s11, v34, vcc_lo
	s_waitcnt lgkmcnt(0)
	global_store_b128 v[33:34], v[29:32], off
.LBB31_10:                              ;   in Loop: Header=BB31_12 Depth=1
	s_or_b32 exec_lo, exec_lo, s1
.LBB31_11:                              ;   in Loop: Header=BB31_12 Depth=1
	s_waitcnt_vscnt null, 0x0
	s_barrier
	buffer_gl0_inv
	ds_load_b32 v13, v14 offset:16384
	s_mov_b32 s3, s34
	s_waitcnt lgkmcnt(0)
	s_barrier
	buffer_gl0_inv
	v_readfirstlane_b32 s0, v13
	s_delay_alu instid0(VALU_DEP_1)
	s_add_i32 s2, s0, s2
	s_cmp_lt_i32 s34, s14
	s_cbranch_scc0 .LBB31_104
.LBB31_12:                              ; =>This Loop Header: Depth=1
                                        ;     Child Loop BB31_15 Depth 2
                                        ;     Child Loop BB31_49 Depth 2
	s_cmp_ge_i32 s16, s7
	ds_store_b32 v14, v14 offset:16384
	ds_store_b128 v22, v[0:3]
	ds_store_b128 v22, v[0:3] offset:128
	ds_store_b128 v22, v[0:3] offset:256
	;; [unrolled: 1-line block ×3, first 2 shown]
	s_waitcnt vmcnt(0) lgkmcnt(0)
	s_waitcnt_vscnt null, 0x0
	s_barrier
	buffer_gl0_inv
	s_cbranch_scc1 .LBB31_45
; %bb.13:                               ;   in Loop: Header=BB31_12 Depth=1
	s_mul_i32 s0, s15, s16
	s_ashr_i32 s17, s16, 31
	v_add_nc_u32_e32 v13, s0, v15
	v_dual_mov_b32 v33, v12 :: v_dual_add_nc_u32 v30, s0, v16
	v_add_nc_u32_e32 v31, s0, v18
	v_add_nc_u32_e32 v32, s0, v20
	s_delay_alu instid0(VALU_DEP_4) | instskip(NEXT) | instid1(VALU_DEP_4)
	v_mul_lo_u32 v29, s15, v13
	v_mul_lo_u32 v30, s15, v30
	s_lshl_b64 s[0:1], s[16:17], 2
	v_mul_lo_u32 v31, s15, v31
	v_mul_lo_u32 v32, s15, v32
	s_add_u32 s0, s12, s0
	s_addc_u32 s1, s13, s1
	s_mov_b32 s25, s14
	s_branch .LBB31_15
.LBB31_14:                              ;   in Loop: Header=BB31_15 Depth=2
	s_add_i32 s16, s16, 1
	s_add_u32 s0, s0, 4
	v_add_nc_u32_e32 v33, s33, v33
	s_addc_u32 s1, s1, 0
	s_cmp_ge_i32 s16, s7
	s_cselect_b32 s25, -1, 0
	s_delay_alu instid0(SALU_CYCLE_1)
	s_and_not1_b32 vcc_lo, exec_lo, s25
	s_mov_b32 s25, s17
	s_cbranch_vccz .LBB31_46
.LBB31_15:                              ;   Parent Loop BB31_12 Depth=1
                                        ; =>  This Inner Loop Header: Depth=2
	s_load_b32 s17, s[0:1], 0x0
	s_mov_b32 s35, -1
	s_waitcnt lgkmcnt(0)
	s_sub_i32 s36, s17, s4
                                        ; implicit-def: $sgpr17
	s_delay_alu instid0(SALU_CYCLE_1)
	s_cmp_eq_u32 s36, s3
	s_cselect_b32 s34, -1, 0
	s_cmp_lg_u32 s36, s3
	s_cbranch_scc1 .LBB31_18
; %bb.16:                               ;   in Loop: Header=BB31_15 Depth=2
	s_and_not1_b32 vcc_lo, exec_lo, s35
	s_cbranch_vccz .LBB31_19
.LBB31_17:                              ;   in Loop: Header=BB31_15 Depth=2
	s_and_not1_b32 vcc_lo, exec_lo, s34
	s_cbranch_vccz .LBB31_14
	s_branch .LBB31_40
.LBB31_18:                              ;   in Loop: Header=BB31_15 Depth=2
	s_min_i32 s17, s36, s25
	s_cbranch_execnz .LBB31_17
.LBB31_19:                              ;   in Loop: Header=BB31_15 Depth=2
	v_mad_u64_u32 v[34:35], null, s16, s15, v[12:13]
	ds_store_b32 v14, v28 offset:16384
	v_mul_lo_u32 v34, v34, s15
	s_and_saveexec_b32 s17, s28
	s_cbranch_execnz .LBB31_23
; %bb.20:                               ;   in Loop: Header=BB31_15 Depth=2
	s_or_b32 exec_lo, exec_lo, s17
	s_and_saveexec_b32 s17, s29
	s_cbranch_execnz .LBB31_27
.LBB31_21:                              ;   in Loop: Header=BB31_15 Depth=2
	s_or_b32 exec_lo, exec_lo, s17
	s_and_saveexec_b32 s17, s30
	s_cbranch_execnz .LBB31_31
.LBB31_22:                              ;   in Loop: Header=BB31_15 Depth=2
	s_or_b32 exec_lo, exec_lo, s17
	s_and_saveexec_b32 s17, s31
	s_cbranch_execnz .LBB31_35
	s_branch .LBB31_39
.LBB31_23:                              ;   in Loop: Header=BB31_15 Depth=2
	s_and_b32 vcc_lo, exec_lo, s27
	s_cbranch_vccz .LBB31_41
; %bb.24:                               ;   in Loop: Header=BB31_15 Depth=2
	v_add_nc_u32_e32 v13, v29, v33
	v_mov_b32_e32 v35, v17
	s_cbranch_execnz .LBB31_26
.LBB31_25:                              ;   in Loop: Header=BB31_15 Depth=2
	s_delay_alu instid0(VALU_DEP_2)
	v_add_nc_u32_e32 v13, v34, v15
	v_mov_b32_e32 v35, v19
.LBB31_26:                              ;   in Loop: Header=BB31_15 Depth=2
	s_delay_alu instid0(VALU_DEP_2) | instskip(NEXT) | instid1(VALU_DEP_2)
	v_lshlrev_b64 v[36:37], 4, v[13:14]
	v_lshlrev_b32_e32 v13, 4, v35
	s_delay_alu instid0(VALU_DEP_2) | instskip(NEXT) | instid1(VALU_DEP_3)
	v_add_co_u32 v36, vcc_lo, s22, v36
	v_add_co_ci_u32_e32 v37, vcc_lo, s23, v37, vcc_lo
	global_load_b128 v[36:39], v[36:37], off
	s_waitcnt vmcnt(0)
	v_mul_f64 v[40:41], v[38:39], -v[6:7]
	v_mul_f64 v[42:43], v[4:5], v[38:39]
	s_delay_alu instid0(VALU_DEP_2) | instskip(NEXT) | instid1(VALU_DEP_2)
	v_fma_f64 v[38:39], v[4:5], v[36:37], v[40:41]
	v_fma_f64 v[40:41], v[6:7], v[36:37], v[42:43]
	ds_store_b128 v13, v[38:41]
	s_or_b32 exec_lo, exec_lo, s17
	s_and_saveexec_b32 s17, s29
	s_cbranch_execz .LBB31_21
.LBB31_27:                              ;   in Loop: Header=BB31_15 Depth=2
	s_and_not1_b32 vcc_lo, exec_lo, s27
	s_cbranch_vccnz .LBB31_42
; %bb.28:                               ;   in Loop: Header=BB31_15 Depth=2
	v_add_nc_u32_e32 v13, v30, v33
	v_mov_b32_e32 v35, v21
	s_cbranch_execnz .LBB31_30
.LBB31_29:                              ;   in Loop: Header=BB31_15 Depth=2
	v_add_nc_u32_e32 v13, v34, v16
	v_mov_b32_e32 v35, v23
.LBB31_30:                              ;   in Loop: Header=BB31_15 Depth=2
	s_delay_alu instid0(VALU_DEP_2) | instskip(NEXT) | instid1(VALU_DEP_2)
	v_lshlrev_b64 v[36:37], 4, v[13:14]
	v_lshlrev_b32_e32 v13, 4, v35
	s_delay_alu instid0(VALU_DEP_2) | instskip(NEXT) | instid1(VALU_DEP_3)
	v_add_co_u32 v36, vcc_lo, s22, v36
	v_add_co_ci_u32_e32 v37, vcc_lo, s23, v37, vcc_lo
	global_load_b128 v[36:39], v[36:37], off
	s_waitcnt vmcnt(0)
	v_mul_f64 v[40:41], v[38:39], -v[6:7]
	v_mul_f64 v[42:43], v[4:5], v[38:39]
	s_delay_alu instid0(VALU_DEP_2) | instskip(NEXT) | instid1(VALU_DEP_2)
	v_fma_f64 v[38:39], v[4:5], v[36:37], v[40:41]
	v_fma_f64 v[40:41], v[6:7], v[36:37], v[42:43]
	ds_store_b128 v13, v[38:41]
	s_or_b32 exec_lo, exec_lo, s17
	s_and_saveexec_b32 s17, s30
	s_cbranch_execz .LBB31_22
.LBB31_31:                              ;   in Loop: Header=BB31_15 Depth=2
	s_and_not1_b32 vcc_lo, exec_lo, s27
	s_cbranch_vccnz .LBB31_43
; %bb.32:                               ;   in Loop: Header=BB31_15 Depth=2
	v_add_nc_u32_e32 v13, v31, v33
	v_mov_b32_e32 v35, v24
	s_cbranch_execnz .LBB31_34
.LBB31_33:                              ;   in Loop: Header=BB31_15 Depth=2
	v_add_nc_u32_e32 v13, v34, v18
	v_mov_b32_e32 v35, v25
.LBB31_34:                              ;   in Loop: Header=BB31_15 Depth=2
	s_delay_alu instid0(VALU_DEP_2) | instskip(NEXT) | instid1(VALU_DEP_2)
	v_lshlrev_b64 v[36:37], 4, v[13:14]
	v_lshlrev_b32_e32 v13, 4, v35
	s_delay_alu instid0(VALU_DEP_2) | instskip(NEXT) | instid1(VALU_DEP_3)
	v_add_co_u32 v36, vcc_lo, s22, v36
	v_add_co_ci_u32_e32 v37, vcc_lo, s23, v37, vcc_lo
	global_load_b128 v[36:39], v[36:37], off
	s_waitcnt vmcnt(0)
	v_mul_f64 v[40:41], v[38:39], -v[6:7]
	v_mul_f64 v[42:43], v[4:5], v[38:39]
	s_delay_alu instid0(VALU_DEP_2) | instskip(NEXT) | instid1(VALU_DEP_2)
	v_fma_f64 v[38:39], v[4:5], v[36:37], v[40:41]
	v_fma_f64 v[40:41], v[6:7], v[36:37], v[42:43]
	ds_store_b128 v13, v[38:41]
	s_or_b32 exec_lo, exec_lo, s17
	s_and_saveexec_b32 s17, s31
	s_cbranch_execz .LBB31_39
.LBB31_35:                              ;   in Loop: Header=BB31_15 Depth=2
	s_and_not1_b32 vcc_lo, exec_lo, s27
	s_cbranch_vccnz .LBB31_44
; %bb.36:                               ;   in Loop: Header=BB31_15 Depth=2
	v_add_nc_u32_e32 v13, v32, v33
	v_mov_b32_e32 v35, v26
	s_cbranch_execnz .LBB31_38
.LBB31_37:                              ;   in Loop: Header=BB31_15 Depth=2
	v_add_nc_u32_e32 v13, v34, v20
	v_mov_b32_e32 v35, v27
.LBB31_38:                              ;   in Loop: Header=BB31_15 Depth=2
	s_delay_alu instid0(VALU_DEP_2) | instskip(NEXT) | instid1(VALU_DEP_2)
	v_lshlrev_b64 v[36:37], 4, v[13:14]
	v_lshlrev_b32_e32 v13, 4, v35
	s_delay_alu instid0(VALU_DEP_2) | instskip(NEXT) | instid1(VALU_DEP_3)
	v_add_co_u32 v36, vcc_lo, s22, v36
	v_add_co_ci_u32_e32 v37, vcc_lo, s23, v37, vcc_lo
	global_load_b128 v[36:39], v[36:37], off
	s_waitcnt vmcnt(0)
	v_mul_f64 v[40:41], v[38:39], -v[6:7]
	v_mul_f64 v[42:43], v[4:5], v[38:39]
	s_delay_alu instid0(VALU_DEP_2) | instskip(NEXT) | instid1(VALU_DEP_2)
	v_fma_f64 v[38:39], v[4:5], v[36:37], v[40:41]
	v_fma_f64 v[40:41], v[6:7], v[36:37], v[42:43]
	ds_store_b128 v13, v[38:41]
.LBB31_39:                              ;   in Loop: Header=BB31_15 Depth=2
	s_or_b32 exec_lo, exec_lo, s17
	s_mov_b32 s17, s25
	s_and_not1_b32 vcc_lo, exec_lo, s34
	s_cbranch_vccz .LBB31_14
.LBB31_40:                              ;   in Loop: Header=BB31_12 Depth=1
                                        ; implicit-def: $vgpr33
                                        ; implicit-def: $sgpr0_sgpr1
	s_mov_b32 s25, s17
	s_branch .LBB31_46
.LBB31_41:                              ;   in Loop: Header=BB31_15 Depth=2
	v_mov_b32_e32 v35, v17
	s_branch .LBB31_25
.LBB31_42:                              ;   in Loop: Header=BB31_15 Depth=2
	v_mov_b32_e32 v35, v21
	s_branch .LBB31_29
.LBB31_43:                              ;   in Loop: Header=BB31_15 Depth=2
	v_mov_b32_e32 v35, v24
	s_branch .LBB31_33
.LBB31_44:                              ;   in Loop: Header=BB31_15 Depth=2
	v_mov_b32_e32 v35, v26
	s_branch .LBB31_37
.LBB31_45:                              ;   in Loop: Header=BB31_12 Depth=1
	s_mov_b32 s17, s14
.LBB31_46:                              ;   in Loop: Header=BB31_12 Depth=1
	s_cmp_ge_i32 s24, s26
	s_waitcnt lgkmcnt(0)
	s_barrier
	buffer_gl0_inv
	s_cbranch_scc1 .LBB31_79
; %bb.47:                               ;   in Loop: Header=BB31_12 Depth=1
	s_mul_i32 s0, s15, s24
	s_ashr_i32 s25, s24, 31
	v_add_nc_u32_e32 v13, s0, v15
	v_dual_mov_b32 v33, v12 :: v_dual_add_nc_u32 v30, s0, v16
	v_add_nc_u32_e32 v31, s0, v18
	v_add_nc_u32_e32 v32, s0, v20
	s_delay_alu instid0(VALU_DEP_4) | instskip(NEXT) | instid1(VALU_DEP_4)
	v_mul_lo_u32 v29, s15, v13
	v_mul_lo_u32 v30, s15, v30
	s_lshl_b64 s[0:1], s[24:25], 2
	v_mul_lo_u32 v31, s15, v31
	v_mul_lo_u32 v32, s15, v32
	s_add_u32 s0, s18, s0
	s_addc_u32 s1, s19, s1
	s_branch .LBB31_49
.LBB31_48:                              ;   in Loop: Header=BB31_49 Depth=2
	s_add_i32 s24, s24, 1
	s_add_u32 s0, s0, 4
	v_add_nc_u32_e32 v33, s33, v33
	s_addc_u32 s1, s1, 0
	s_cmp_ge_i32 s24, s26
	s_cselect_b32 s17, -1, 0
	s_delay_alu instid0(SALU_CYCLE_1)
	s_and_not1_b32 vcc_lo, exec_lo, s17
	s_mov_b32 s17, s34
	s_cbranch_vccz .LBB31_80
.LBB31_49:                              ;   Parent Loop BB31_12 Depth=1
                                        ; =>  This Inner Loop Header: Depth=2
	s_load_b32 s25, s[0:1], 0x0
	s_mov_b32 s35, -1
                                        ; implicit-def: $sgpr34
	s_waitcnt lgkmcnt(0)
	s_sub_i32 s36, s25, s5
	s_delay_alu instid0(SALU_CYCLE_1)
	s_cmp_eq_u32 s36, s3
	s_cselect_b32 s25, -1, 0
	s_cmp_lg_u32 s36, s3
	s_cbranch_scc1 .LBB31_52
; %bb.50:                               ;   in Loop: Header=BB31_49 Depth=2
	s_and_not1_b32 vcc_lo, exec_lo, s35
	s_cbranch_vccz .LBB31_53
.LBB31_51:                              ;   in Loop: Header=BB31_49 Depth=2
	s_and_not1_b32 vcc_lo, exec_lo, s25
	s_cbranch_vccz .LBB31_48
	s_branch .LBB31_74
.LBB31_52:                              ;   in Loop: Header=BB31_49 Depth=2
	s_min_i32 s34, s36, s17
	s_cbranch_execnz .LBB31_51
.LBB31_53:                              ;   in Loop: Header=BB31_49 Depth=2
	v_mad_u64_u32 v[34:35], null, s24, s15, v[12:13]
	ds_store_b32 v14, v28 offset:16384
	v_mul_lo_u32 v34, v34, s15
	s_and_saveexec_b32 s34, s28
	s_cbranch_execnz .LBB31_57
; %bb.54:                               ;   in Loop: Header=BB31_49 Depth=2
	s_or_b32 exec_lo, exec_lo, s34
	s_and_saveexec_b32 s34, s29
	s_cbranch_execnz .LBB31_61
.LBB31_55:                              ;   in Loop: Header=BB31_49 Depth=2
	s_or_b32 exec_lo, exec_lo, s34
	s_and_saveexec_b32 s34, s30
	s_cbranch_execnz .LBB31_65
.LBB31_56:                              ;   in Loop: Header=BB31_49 Depth=2
	s_or_b32 exec_lo, exec_lo, s34
	s_and_saveexec_b32 s34, s31
	s_cbranch_execnz .LBB31_69
	s_branch .LBB31_73
.LBB31_57:                              ;   in Loop: Header=BB31_49 Depth=2
	s_and_b32 vcc_lo, exec_lo, s27
	s_cbranch_vccz .LBB31_75
; %bb.58:                               ;   in Loop: Header=BB31_49 Depth=2
	v_add_nc_u32_e32 v13, v29, v33
	v_mov_b32_e32 v35, v17
	s_cbranch_execnz .LBB31_60
.LBB31_59:                              ;   in Loop: Header=BB31_49 Depth=2
	s_delay_alu instid0(VALU_DEP_2)
	v_add_nc_u32_e32 v13, v34, v15
	v_mov_b32_e32 v35, v19
.LBB31_60:                              ;   in Loop: Header=BB31_49 Depth=2
	s_delay_alu instid0(VALU_DEP_2) | instskip(NEXT) | instid1(VALU_DEP_2)
	v_lshlrev_b64 v[36:37], 4, v[13:14]
	v_lshlrev_b32_e32 v13, 4, v35
	ds_load_b128 v[40:43], v13
	v_add_co_u32 v36, vcc_lo, s20, v36
	v_add_co_ci_u32_e32 v37, vcc_lo, s21, v37, vcc_lo
	global_load_b128 v[36:39], v[36:37], off
	s_waitcnt vmcnt(0) lgkmcnt(0)
	v_fma_f64 v[40:41], v[8:9], v[36:37], v[40:41]
	v_fma_f64 v[42:43], v[10:11], v[36:37], v[42:43]
	s_delay_alu instid0(VALU_DEP_2) | instskip(NEXT) | instid1(VALU_DEP_2)
	v_fma_f64 v[35:36], -v[10:11], v[38:39], v[40:41]
	v_fma_f64 v[37:38], v[8:9], v[38:39], v[42:43]
	ds_store_b128 v13, v[35:38]
	s_or_b32 exec_lo, exec_lo, s34
	s_and_saveexec_b32 s34, s29
	s_cbranch_execz .LBB31_55
.LBB31_61:                              ;   in Loop: Header=BB31_49 Depth=2
	s_and_not1_b32 vcc_lo, exec_lo, s27
	s_cbranch_vccnz .LBB31_76
; %bb.62:                               ;   in Loop: Header=BB31_49 Depth=2
	v_add_nc_u32_e32 v13, v30, v33
	v_mov_b32_e32 v35, v21
	s_cbranch_execnz .LBB31_64
.LBB31_63:                              ;   in Loop: Header=BB31_49 Depth=2
	v_add_nc_u32_e32 v13, v34, v16
	v_mov_b32_e32 v35, v23
.LBB31_64:                              ;   in Loop: Header=BB31_49 Depth=2
	s_delay_alu instid0(VALU_DEP_2) | instskip(NEXT) | instid1(VALU_DEP_2)
	v_lshlrev_b64 v[36:37], 4, v[13:14]
	v_lshlrev_b32_e32 v13, 4, v35
	ds_load_b128 v[40:43], v13
	v_add_co_u32 v36, vcc_lo, s20, v36
	v_add_co_ci_u32_e32 v37, vcc_lo, s21, v37, vcc_lo
	global_load_b128 v[36:39], v[36:37], off
	s_waitcnt vmcnt(0) lgkmcnt(0)
	v_fma_f64 v[40:41], v[8:9], v[36:37], v[40:41]
	v_fma_f64 v[42:43], v[10:11], v[36:37], v[42:43]
	s_delay_alu instid0(VALU_DEP_2) | instskip(NEXT) | instid1(VALU_DEP_2)
	v_fma_f64 v[35:36], -v[10:11], v[38:39], v[40:41]
	v_fma_f64 v[37:38], v[8:9], v[38:39], v[42:43]
	ds_store_b128 v13, v[35:38]
	s_or_b32 exec_lo, exec_lo, s34
	s_and_saveexec_b32 s34, s30
	s_cbranch_execz .LBB31_56
.LBB31_65:                              ;   in Loop: Header=BB31_49 Depth=2
	s_and_not1_b32 vcc_lo, exec_lo, s27
	s_cbranch_vccnz .LBB31_77
; %bb.66:                               ;   in Loop: Header=BB31_49 Depth=2
	v_add_nc_u32_e32 v13, v31, v33
	v_mov_b32_e32 v35, v24
	s_cbranch_execnz .LBB31_68
.LBB31_67:                              ;   in Loop: Header=BB31_49 Depth=2
	v_add_nc_u32_e32 v13, v34, v18
	v_mov_b32_e32 v35, v25
.LBB31_68:                              ;   in Loop: Header=BB31_49 Depth=2
	s_delay_alu instid0(VALU_DEP_2) | instskip(NEXT) | instid1(VALU_DEP_2)
	v_lshlrev_b64 v[36:37], 4, v[13:14]
	v_lshlrev_b32_e32 v13, 4, v35
	ds_load_b128 v[40:43], v13
	v_add_co_u32 v36, vcc_lo, s20, v36
	v_add_co_ci_u32_e32 v37, vcc_lo, s21, v37, vcc_lo
	global_load_b128 v[36:39], v[36:37], off
	s_waitcnt vmcnt(0) lgkmcnt(0)
	v_fma_f64 v[40:41], v[8:9], v[36:37], v[40:41]
	v_fma_f64 v[42:43], v[10:11], v[36:37], v[42:43]
	s_delay_alu instid0(VALU_DEP_2) | instskip(NEXT) | instid1(VALU_DEP_2)
	v_fma_f64 v[35:36], -v[10:11], v[38:39], v[40:41]
	v_fma_f64 v[37:38], v[8:9], v[38:39], v[42:43]
	ds_store_b128 v13, v[35:38]
	s_or_b32 exec_lo, exec_lo, s34
	s_and_saveexec_b32 s34, s31
	s_cbranch_execz .LBB31_73
.LBB31_69:                              ;   in Loop: Header=BB31_49 Depth=2
	s_and_not1_b32 vcc_lo, exec_lo, s27
	s_cbranch_vccnz .LBB31_78
; %bb.70:                               ;   in Loop: Header=BB31_49 Depth=2
	v_add_nc_u32_e32 v13, v32, v33
	v_mov_b32_e32 v35, v26
	s_cbranch_execnz .LBB31_72
.LBB31_71:                              ;   in Loop: Header=BB31_49 Depth=2
	v_add_nc_u32_e32 v13, v34, v20
	v_mov_b32_e32 v35, v27
.LBB31_72:                              ;   in Loop: Header=BB31_49 Depth=2
	s_delay_alu instid0(VALU_DEP_2) | instskip(NEXT) | instid1(VALU_DEP_2)
	v_lshlrev_b64 v[36:37], 4, v[13:14]
	v_lshlrev_b32_e32 v13, 4, v35
	ds_load_b128 v[40:43], v13
	v_add_co_u32 v36, vcc_lo, s20, v36
	v_add_co_ci_u32_e32 v37, vcc_lo, s21, v37, vcc_lo
	global_load_b128 v[36:39], v[36:37], off
	s_waitcnt vmcnt(0) lgkmcnt(0)
	v_fma_f64 v[34:35], v[8:9], v[36:37], v[40:41]
	v_fma_f64 v[36:37], v[10:11], v[36:37], v[42:43]
	s_delay_alu instid0(VALU_DEP_2) | instskip(NEXT) | instid1(VALU_DEP_2)
	v_fma_f64 v[34:35], -v[10:11], v[38:39], v[34:35]
	v_fma_f64 v[36:37], v[8:9], v[38:39], v[36:37]
	ds_store_b128 v13, v[34:37]
.LBB31_73:                              ;   in Loop: Header=BB31_49 Depth=2
	s_or_b32 exec_lo, exec_lo, s34
	s_mov_b32 s34, s17
	s_and_not1_b32 vcc_lo, exec_lo, s25
	s_cbranch_vccz .LBB31_48
.LBB31_74:                              ;   in Loop: Header=BB31_12 Depth=1
                                        ; implicit-def: $vgpr33
                                        ; implicit-def: $sgpr0_sgpr1
	s_mov_b32 s17, s34
	s_branch .LBB31_80
.LBB31_75:                              ;   in Loop: Header=BB31_49 Depth=2
	v_mov_b32_e32 v35, v17
	s_branch .LBB31_59
.LBB31_76:                              ;   in Loop: Header=BB31_49 Depth=2
	v_mov_b32_e32 v35, v21
	s_branch .LBB31_63
.LBB31_77:                              ;   in Loop: Header=BB31_49 Depth=2
	v_mov_b32_e32 v35, v24
	s_branch .LBB31_67
.LBB31_78:                              ;   in Loop: Header=BB31_49 Depth=2
	v_mov_b32_e32 v35, v26
	s_branch .LBB31_71
.LBB31_79:                              ;   in Loop: Header=BB31_12 Depth=1
	s_mov_b32 s34, s17
.LBB31_80:                              ;   in Loop: Header=BB31_12 Depth=1
	s_waitcnt lgkmcnt(0)
	s_barrier
	buffer_gl0_inv
	ds_load_b32 v13, v14 offset:16384
	s_waitcnt lgkmcnt(0)
	v_cmp_eq_u32_e32 vcc_lo, 0, v13
	s_cbranch_vccnz .LBB31_11
; %bb.81:                               ;   in Loop: Header=BB31_12 Depth=1
	s_mul_i32 s0, s2, s15
	s_add_i32 s1, s3, s6
	v_add_nc_u32_e32 v13, s0, v12
	s_ashr_i32 s3, s2, 31
	s_delay_alu instid0(SALU_CYCLE_1) | instskip(NEXT) | instid1(SALU_CYCLE_1)
	s_lshl_b64 s[36:37], s[2:3], 2
	s_add_u32 s36, s8, s36
	s_delay_alu instid0(VALU_DEP_1)
	v_mul_lo_u32 v29, v13, s15
	v_mov_b32_e32 v13, s1
	s_addc_u32 s37, s9, s37
	global_store_b32 v14, v13, s[36:37]
	s_and_saveexec_b32 s1, s28
	s_cbranch_execnz .LBB31_85
; %bb.82:                               ;   in Loop: Header=BB31_12 Depth=1
	s_or_b32 exec_lo, exec_lo, s1
	s_and_saveexec_b32 s1, s29
	s_cbranch_execnz .LBB31_89
.LBB31_83:                              ;   in Loop: Header=BB31_12 Depth=1
	s_or_b32 exec_lo, exec_lo, s1
	s_and_saveexec_b32 s1, s30
	s_cbranch_execnz .LBB31_93
.LBB31_84:                              ;   in Loop: Header=BB31_12 Depth=1
	s_or_b32 exec_lo, exec_lo, s1
	s_and_saveexec_b32 s1, s31
	s_cbranch_execz .LBB31_10
	s_branch .LBB31_97
.LBB31_85:                              ;   in Loop: Header=BB31_12 Depth=1
	s_and_b32 vcc_lo, exec_lo, s27
	s_cbranch_vccz .LBB31_99
; %bb.86:                               ;   in Loop: Header=BB31_12 Depth=1
	v_add_nc_u32_e32 v13, s0, v15
	s_delay_alu instid0(VALU_DEP_1) | instskip(NEXT) | instid1(VALU_DEP_1)
	v_mad_u64_u32 v[30:31], null, v13, s15, v[12:13]
	v_dual_mov_b32 v13, v30 :: v_dual_mov_b32 v30, v17
	s_cbranch_execnz .LBB31_88
.LBB31_87:                              ;   in Loop: Header=BB31_12 Depth=1
	v_dual_mov_b32 v30, v19 :: v_dual_add_nc_u32 v13, v29, v15
.LBB31_88:                              ;   in Loop: Header=BB31_12 Depth=1
	s_delay_alu instid0(VALU_DEP_1) | instskip(NEXT) | instid1(VALU_DEP_2)
	v_lshlrev_b32_e32 v30, 4, v30
	v_lshlrev_b64 v[34:35], 4, v[13:14]
	ds_load_2addr_b64 v[30:33], v30 offset1:1
	v_add_co_u32 v34, vcc_lo, s10, v34
	v_add_co_ci_u32_e32 v35, vcc_lo, s11, v35, vcc_lo
	s_waitcnt lgkmcnt(0)
	global_store_b128 v[34:35], v[30:33], off
	s_or_b32 exec_lo, exec_lo, s1
	s_and_saveexec_b32 s1, s29
	s_cbranch_execz .LBB31_83
.LBB31_89:                              ;   in Loop: Header=BB31_12 Depth=1
	s_and_not1_b32 vcc_lo, exec_lo, s27
	s_cbranch_vccnz .LBB31_100
; %bb.90:                               ;   in Loop: Header=BB31_12 Depth=1
	v_add_nc_u32_e32 v13, s0, v16
	s_delay_alu instid0(VALU_DEP_1) | instskip(NEXT) | instid1(VALU_DEP_1)
	v_mad_u64_u32 v[30:31], null, v13, s15, v[12:13]
	v_dual_mov_b32 v13, v30 :: v_dual_mov_b32 v30, v21
	s_cbranch_execnz .LBB31_92
.LBB31_91:                              ;   in Loop: Header=BB31_12 Depth=1
	v_dual_mov_b32 v30, v23 :: v_dual_add_nc_u32 v13, v29, v16
.LBB31_92:                              ;   in Loop: Header=BB31_12 Depth=1
	s_delay_alu instid0(VALU_DEP_1) | instskip(NEXT) | instid1(VALU_DEP_2)
	v_lshlrev_b32_e32 v30, 4, v30
	v_lshlrev_b64 v[34:35], 4, v[13:14]
	ds_load_2addr_b64 v[30:33], v30 offset1:1
	v_add_co_u32 v34, vcc_lo, s10, v34
	v_add_co_ci_u32_e32 v35, vcc_lo, s11, v35, vcc_lo
	s_waitcnt lgkmcnt(0)
	global_store_b128 v[34:35], v[30:33], off
	s_or_b32 exec_lo, exec_lo, s1
	s_and_saveexec_b32 s1, s30
	s_cbranch_execz .LBB31_84
.LBB31_93:                              ;   in Loop: Header=BB31_12 Depth=1
	s_and_not1_b32 vcc_lo, exec_lo, s27
	s_cbranch_vccnz .LBB31_101
; %bb.94:                               ;   in Loop: Header=BB31_12 Depth=1
	v_add_nc_u32_e32 v13, s0, v18
	s_delay_alu instid0(VALU_DEP_1) | instskip(NEXT) | instid1(VALU_DEP_1)
	v_mad_u64_u32 v[30:31], null, v13, s15, v[12:13]
	v_dual_mov_b32 v13, v30 :: v_dual_mov_b32 v30, v24
	s_cbranch_execnz .LBB31_96
.LBB31_95:                              ;   in Loop: Header=BB31_12 Depth=1
	v_add_nc_u32_e32 v13, v29, v18
	v_mov_b32_e32 v30, v25
.LBB31_96:                              ;   in Loop: Header=BB31_12 Depth=1
	s_delay_alu instid0(VALU_DEP_1) | instskip(NEXT) | instid1(VALU_DEP_2)
	v_lshlrev_b32_e32 v30, 4, v30
	v_lshlrev_b64 v[34:35], 4, v[13:14]
	ds_load_2addr_b64 v[30:33], v30 offset1:1
	v_add_co_u32 v34, vcc_lo, s10, v34
	v_add_co_ci_u32_e32 v35, vcc_lo, s11, v35, vcc_lo
	s_waitcnt lgkmcnt(0)
	global_store_b128 v[34:35], v[30:33], off
	s_or_b32 exec_lo, exec_lo, s1
	s_and_saveexec_b32 s1, s31
	s_cbranch_execz .LBB31_10
.LBB31_97:                              ;   in Loop: Header=BB31_12 Depth=1
	s_and_not1_b32 vcc_lo, exec_lo, s27
	s_cbranch_vccnz .LBB31_102
; %bb.98:                               ;   in Loop: Header=BB31_12 Depth=1
	v_add_nc_u32_e32 v13, s0, v20
	s_delay_alu instid0(VALU_DEP_1) | instskip(NEXT) | instid1(VALU_DEP_1)
	v_mad_u64_u32 v[30:31], null, v13, s15, v[12:13]
	v_mov_b32_e32 v13, v30
	v_mov_b32_e32 v30, v26
	s_cbranch_execnz .LBB31_9
	s_branch .LBB31_103
.LBB31_99:                              ;   in Loop: Header=BB31_12 Depth=1
	v_mov_b32_e32 v30, v17
	s_branch .LBB31_87
.LBB31_100:                             ;   in Loop: Header=BB31_12 Depth=1
	v_mov_b32_e32 v30, v21
	s_branch .LBB31_91
.LBB31_101:                             ;   in Loop: Header=BB31_12 Depth=1
	v_mov_b32_e32 v30, v24
	s_branch .LBB31_95
.LBB31_102:                             ;   in Loop: Header=BB31_12 Depth=1
	v_mov_b32_e32 v30, v26
.LBB31_103:                             ;   in Loop: Header=BB31_12 Depth=1
	v_dual_mov_b32 v30, v27 :: v_dual_add_nc_u32 v13, v29, v20
	s_branch .LBB31_9
.LBB31_104:
	s_endpgm
	.section	.rodata,"a",@progbits
	.p2align	6, 0x0
	.amdhsa_kernel _ZN9rocsparseL39bsrgeam_block_per_row_multipass_kernel2ILj256ELj32E21rocsparse_complex_numIdEEEv20rocsparse_direction_iiiNS_24const_host_device_scalarIT1_EEPKiS8_PKS5_S6_S8_S8_SA_S8_PiPS5_21rocsparse_index_base_SD_SD_b
		.amdhsa_group_segment_fixed_size 18440
		.amdhsa_private_segment_fixed_size 16
		.amdhsa_kernarg_size 136
		.amdhsa_user_sgpr_count 15
		.amdhsa_user_sgpr_dispatch_ptr 1
		.amdhsa_user_sgpr_queue_ptr 0
		.amdhsa_user_sgpr_kernarg_segment_ptr 1
		.amdhsa_user_sgpr_dispatch_id 0
		.amdhsa_user_sgpr_private_segment_size 0
		.amdhsa_wavefront_size32 1
		.amdhsa_uses_dynamic_stack 0
		.amdhsa_enable_private_segment 1
		.amdhsa_system_sgpr_workgroup_id_x 1
		.amdhsa_system_sgpr_workgroup_id_y 0
		.amdhsa_system_sgpr_workgroup_id_z 0
		.amdhsa_system_sgpr_workgroup_info 0
		.amdhsa_system_vgpr_workitem_id 2
		.amdhsa_next_free_vgpr 44
		.amdhsa_next_free_sgpr 40
		.amdhsa_reserve_vcc 1
		.amdhsa_float_round_mode_32 0
		.amdhsa_float_round_mode_16_64 0
		.amdhsa_float_denorm_mode_32 3
		.amdhsa_float_denorm_mode_16_64 3
		.amdhsa_dx10_clamp 1
		.amdhsa_ieee_mode 1
		.amdhsa_fp16_overflow 0
		.amdhsa_workgroup_processor_mode 1
		.amdhsa_memory_ordered 1
		.amdhsa_forward_progress 0
		.amdhsa_shared_vgpr_count 0
		.amdhsa_exception_fp_ieee_invalid_op 0
		.amdhsa_exception_fp_denorm_src 0
		.amdhsa_exception_fp_ieee_div_zero 0
		.amdhsa_exception_fp_ieee_overflow 0
		.amdhsa_exception_fp_ieee_underflow 0
		.amdhsa_exception_fp_ieee_inexact 0
		.amdhsa_exception_int_div_zero 0
	.end_amdhsa_kernel
	.section	.text._ZN9rocsparseL39bsrgeam_block_per_row_multipass_kernel2ILj256ELj32E21rocsparse_complex_numIdEEEv20rocsparse_direction_iiiNS_24const_host_device_scalarIT1_EEPKiS8_PKS5_S6_S8_S8_SA_S8_PiPS5_21rocsparse_index_base_SD_SD_b,"axG",@progbits,_ZN9rocsparseL39bsrgeam_block_per_row_multipass_kernel2ILj256ELj32E21rocsparse_complex_numIdEEEv20rocsparse_direction_iiiNS_24const_host_device_scalarIT1_EEPKiS8_PKS5_S6_S8_S8_SA_S8_PiPS5_21rocsparse_index_base_SD_SD_b,comdat
.Lfunc_end31:
	.size	_ZN9rocsparseL39bsrgeam_block_per_row_multipass_kernel2ILj256ELj32E21rocsparse_complex_numIdEEEv20rocsparse_direction_iiiNS_24const_host_device_scalarIT1_EEPKiS8_PKS5_S6_S8_S8_SA_S8_PiPS5_21rocsparse_index_base_SD_SD_b, .Lfunc_end31-_ZN9rocsparseL39bsrgeam_block_per_row_multipass_kernel2ILj256ELj32E21rocsparse_complex_numIdEEEv20rocsparse_direction_iiiNS_24const_host_device_scalarIT1_EEPKiS8_PKS5_S6_S8_S8_SA_S8_PiPS5_21rocsparse_index_base_SD_SD_b
                                        ; -- End function
	.section	.AMDGPU.csdata,"",@progbits
; Kernel info:
; codeLenInByte = 3172
; NumSgprs: 42
; NumVgprs: 44
; ScratchSize: 16
; MemoryBound: 0
; FloatMode: 240
; IeeeMode: 1
; LDSByteSize: 18440 bytes/workgroup (compile time only)
; SGPRBlocks: 5
; VGPRBlocks: 5
; NumSGPRsForWavesPerEU: 42
; NumVGPRsForWavesPerEU: 44
; Occupancy: 14
; WaveLimiterHint : 1
; COMPUTE_PGM_RSRC2:SCRATCH_EN: 1
; COMPUTE_PGM_RSRC2:USER_SGPR: 15
; COMPUTE_PGM_RSRC2:TRAP_HANDLER: 0
; COMPUTE_PGM_RSRC2:TGID_X_EN: 1
; COMPUTE_PGM_RSRC2:TGID_Y_EN: 0
; COMPUTE_PGM_RSRC2:TGID_Z_EN: 0
; COMPUTE_PGM_RSRC2:TIDIG_COMP_CNT: 2
	.text
	.p2alignl 7, 3214868480
	.fill 96, 4, 3214868480
	.type	__hip_cuid_98a933d0dd132ad5,@object ; @__hip_cuid_98a933d0dd132ad5
	.section	.bss,"aw",@nobits
	.globl	__hip_cuid_98a933d0dd132ad5
__hip_cuid_98a933d0dd132ad5:
	.byte	0                               ; 0x0
	.size	__hip_cuid_98a933d0dd132ad5, 1

	.ident	"AMD clang version 19.0.0git (https://github.com/RadeonOpenCompute/llvm-project roc-6.4.0 25133 c7fe45cf4b819c5991fe208aaa96edf142730f1d)"
	.section	".note.GNU-stack","",@progbits
	.addrsig
	.addrsig_sym __hip_cuid_98a933d0dd132ad5
	.amdgpu_metadata
---
amdhsa.kernels:
  - .args:
      - .offset:         0
        .size:           4
        .value_kind:     by_value
      - .offset:         4
        .size:           4
        .value_kind:     by_value
      - .offset:         8
        .size:           4
        .value_kind:     by_value
      - .offset:         12
        .size:           4
        .value_kind:     by_value
      - .offset:         16
        .size:           8
        .value_kind:     by_value
      - .actual_access:  read_only
        .address_space:  global
        .offset:         24
        .size:           8
        .value_kind:     global_buffer
      - .actual_access:  read_only
        .address_space:  global
        .offset:         32
        .size:           8
        .value_kind:     global_buffer
      - .actual_access:  read_only
        .address_space:  global
        .offset:         40
        .size:           8
        .value_kind:     global_buffer
      - .offset:         48
        .size:           8
        .value_kind:     by_value
      - .actual_access:  read_only
        .address_space:  global
        .offset:         56
        .size:           8
        .value_kind:     global_buffer
      - .actual_access:  read_only
        .address_space:  global
        .offset:         64
        .size:           8
        .value_kind:     global_buffer
      - .actual_access:  read_only
        .address_space:  global
        .offset:         72
        .size:           8
        .value_kind:     global_buffer
      - .actual_access:  read_only
        .address_space:  global
        .offset:         80
        .size:           8
        .value_kind:     global_buffer
      - .actual_access:  write_only
        .address_space:  global
        .offset:         88
        .size:           8
        .value_kind:     global_buffer
      - .actual_access:  write_only
        .address_space:  global
        .offset:         96
        .size:           8
        .value_kind:     global_buffer
      - .offset:         104
        .size:           4
        .value_kind:     by_value
      - .offset:         108
        .size:           4
        .value_kind:     by_value
      - .offset:         112
        .size:           4
        .value_kind:     by_value
      - .offset:         116
        .size:           1
        .value_kind:     by_value
    .group_segment_fixed_size: 4352
    .kernarg_segment_align: 8
    .kernarg_segment_size: 120
    .language:       OpenCL C
    .language_version:
      - 2
      - 0
    .max_flat_workgroup_size: 256
    .name:           _ZN9rocsparseL39bsrgeam_wf_per_row_multipass_2_3_kernelILj256ELj2ELj32EfEEv20rocsparse_direction_iiiNS_24const_host_device_scalarIT2_EEPKiS6_PKS3_S4_S6_S6_S8_S6_PiPS3_21rocsparse_index_base_SB_SB_b
    .private_segment_fixed_size: 0
    .sgpr_count:     28
    .sgpr_spill_count: 0
    .symbol:         _ZN9rocsparseL39bsrgeam_wf_per_row_multipass_2_3_kernelILj256ELj2ELj32EfEEv20rocsparse_direction_iiiNS_24const_host_device_scalarIT2_EEPKiS6_PKS3_S4_S6_S6_S8_S6_PiPS3_21rocsparse_index_base_SB_SB_b.kd
    .uniform_work_group_size: 1
    .uses_dynamic_stack: false
    .vgpr_count:     36
    .vgpr_spill_count: 0
    .wavefront_size: 32
    .workgroup_processor_mode: 1
  - .args:
      - .offset:         0
        .size:           4
        .value_kind:     by_value
      - .offset:         4
        .size:           4
        .value_kind:     by_value
      - .offset:         8
        .size:           4
        .value_kind:     by_value
      - .offset:         12
        .size:           4
        .value_kind:     by_value
      - .offset:         16
        .size:           8
        .value_kind:     by_value
      - .actual_access:  read_only
        .address_space:  global
        .offset:         24
        .size:           8
        .value_kind:     global_buffer
      - .actual_access:  read_only
        .address_space:  global
        .offset:         32
        .size:           8
        .value_kind:     global_buffer
      - .actual_access:  read_only
        .address_space:  global
        .offset:         40
        .size:           8
        .value_kind:     global_buffer
      - .offset:         48
        .size:           8
        .value_kind:     by_value
      - .actual_access:  read_only
        .address_space:  global
        .offset:         56
        .size:           8
        .value_kind:     global_buffer
      - .actual_access:  read_only
        .address_space:  global
        .offset:         64
        .size:           8
        .value_kind:     global_buffer
      - .actual_access:  read_only
        .address_space:  global
        .offset:         72
        .size:           8
        .value_kind:     global_buffer
      - .actual_access:  read_only
        .address_space:  global
        .offset:         80
        .size:           8
        .value_kind:     global_buffer
      - .actual_access:  write_only
        .address_space:  global
        .offset:         88
        .size:           8
        .value_kind:     global_buffer
      - .actual_access:  write_only
        .address_space:  global
        .offset:         96
        .size:           8
        .value_kind:     global_buffer
      - .offset:         104
        .size:           4
        .value_kind:     by_value
      - .offset:         108
        .size:           4
        .value_kind:     by_value
      - .offset:         112
        .size:           4
        .value_kind:     by_value
      - .offset:         116
        .size:           1
        .value_kind:     by_value
    .group_segment_fixed_size: 4352
    .kernarg_segment_align: 8
    .kernarg_segment_size: 120
    .language:       OpenCL C
    .language_version:
      - 2
      - 0
    .max_flat_workgroup_size: 256
    .name:           _ZN9rocsparseL39bsrgeam_wf_per_row_multipass_2_3_kernelILj256ELj2ELj64EfEEv20rocsparse_direction_iiiNS_24const_host_device_scalarIT2_EEPKiS6_PKS3_S4_S6_S6_S8_S6_PiPS3_21rocsparse_index_base_SB_SB_b
    .private_segment_fixed_size: 0
    .sgpr_count:     28
    .sgpr_spill_count: 0
    .symbol:         _ZN9rocsparseL39bsrgeam_wf_per_row_multipass_2_3_kernelILj256ELj2ELj64EfEEv20rocsparse_direction_iiiNS_24const_host_device_scalarIT2_EEPKiS6_PKS3_S4_S6_S6_S8_S6_PiPS3_21rocsparse_index_base_SB_SB_b.kd
    .uniform_work_group_size: 1
    .uses_dynamic_stack: false
    .vgpr_count:     38
    .vgpr_spill_count: 0
    .wavefront_size: 32
    .workgroup_processor_mode: 1
  - .args:
      - .offset:         0
        .size:           4
        .value_kind:     by_value
      - .offset:         4
        .size:           4
        .value_kind:     by_value
      - .offset:         8
        .size:           4
        .value_kind:     by_value
      - .offset:         12
        .size:           4
        .value_kind:     by_value
      - .offset:         16
        .size:           8
        .value_kind:     by_value
      - .actual_access:  read_only
        .address_space:  global
        .offset:         24
        .size:           8
        .value_kind:     global_buffer
      - .actual_access:  read_only
        .address_space:  global
        .offset:         32
        .size:           8
        .value_kind:     global_buffer
      - .actual_access:  read_only
        .address_space:  global
        .offset:         40
        .size:           8
        .value_kind:     global_buffer
      - .offset:         48
        .size:           8
        .value_kind:     by_value
      - .actual_access:  read_only
        .address_space:  global
        .offset:         56
        .size:           8
        .value_kind:     global_buffer
      - .actual_access:  read_only
        .address_space:  global
        .offset:         64
        .size:           8
        .value_kind:     global_buffer
      - .actual_access:  read_only
        .address_space:  global
        .offset:         72
        .size:           8
        .value_kind:     global_buffer
      - .actual_access:  read_only
        .address_space:  global
        .offset:         80
        .size:           8
        .value_kind:     global_buffer
      - .actual_access:  write_only
        .address_space:  global
        .offset:         88
        .size:           8
        .value_kind:     global_buffer
      - .actual_access:  write_only
        .address_space:  global
        .offset:         96
        .size:           8
        .value_kind:     global_buffer
      - .offset:         104
        .size:           4
        .value_kind:     by_value
      - .offset:         108
        .size:           4
        .value_kind:     by_value
      - .offset:         112
        .size:           4
        .value_kind:     by_value
      - .offset:         116
        .size:           1
        .value_kind:     by_value
    .group_segment_fixed_size: 9472
    .kernarg_segment_align: 8
    .kernarg_segment_size: 120
    .language:       OpenCL C
    .language_version:
      - 2
      - 0
    .max_flat_workgroup_size: 256
    .name:           _ZN9rocsparseL39bsrgeam_wf_per_row_multipass_2_3_kernelILj256ELj3ELj32EfEEv20rocsparse_direction_iiiNS_24const_host_device_scalarIT2_EEPKiS6_PKS3_S4_S6_S6_S8_S6_PiPS3_21rocsparse_index_base_SB_SB_b
    .private_segment_fixed_size: 0
    .sgpr_count:     32
    .sgpr_spill_count: 0
    .symbol:         _ZN9rocsparseL39bsrgeam_wf_per_row_multipass_2_3_kernelILj256ELj3ELj32EfEEv20rocsparse_direction_iiiNS_24const_host_device_scalarIT2_EEPKiS6_PKS3_S4_S6_S6_S8_S6_PiPS3_21rocsparse_index_base_SB_SB_b.kd
    .uniform_work_group_size: 1
    .uses_dynamic_stack: false
    .vgpr_count:     51
    .vgpr_spill_count: 0
    .wavefront_size: 32
    .workgroup_processor_mode: 1
  - .args:
      - .offset:         0
        .size:           4
        .value_kind:     by_value
      - .offset:         4
        .size:           4
        .value_kind:     by_value
      - .offset:         8
        .size:           4
        .value_kind:     by_value
      - .offset:         12
        .size:           4
        .value_kind:     by_value
      - .offset:         16
        .size:           8
        .value_kind:     by_value
      - .actual_access:  read_only
        .address_space:  global
        .offset:         24
        .size:           8
        .value_kind:     global_buffer
      - .actual_access:  read_only
        .address_space:  global
        .offset:         32
        .size:           8
        .value_kind:     global_buffer
      - .actual_access:  read_only
        .address_space:  global
        .offset:         40
        .size:           8
        .value_kind:     global_buffer
      - .offset:         48
        .size:           8
        .value_kind:     by_value
      - .actual_access:  read_only
        .address_space:  global
        .offset:         56
        .size:           8
        .value_kind:     global_buffer
      - .actual_access:  read_only
        .address_space:  global
        .offset:         64
        .size:           8
        .value_kind:     global_buffer
      - .actual_access:  read_only
        .address_space:  global
        .offset:         72
        .size:           8
        .value_kind:     global_buffer
      - .actual_access:  read_only
        .address_space:  global
        .offset:         80
        .size:           8
        .value_kind:     global_buffer
      - .actual_access:  write_only
        .address_space:  global
        .offset:         88
        .size:           8
        .value_kind:     global_buffer
      - .actual_access:  write_only
        .address_space:  global
        .offset:         96
        .size:           8
        .value_kind:     global_buffer
      - .offset:         104
        .size:           4
        .value_kind:     by_value
      - .offset:         108
        .size:           4
        .value_kind:     by_value
      - .offset:         112
        .size:           4
        .value_kind:     by_value
      - .offset:         116
        .size:           1
        .value_kind:     by_value
    .group_segment_fixed_size: 9472
    .kernarg_segment_align: 8
    .kernarg_segment_size: 120
    .language:       OpenCL C
    .language_version:
      - 2
      - 0
    .max_flat_workgroup_size: 256
    .name:           _ZN9rocsparseL39bsrgeam_wf_per_row_multipass_2_3_kernelILj256ELj3ELj64EfEEv20rocsparse_direction_iiiNS_24const_host_device_scalarIT2_EEPKiS6_PKS3_S4_S6_S6_S8_S6_PiPS3_21rocsparse_index_base_SB_SB_b
    .private_segment_fixed_size: 0
    .sgpr_count:     32
    .sgpr_spill_count: 0
    .symbol:         _ZN9rocsparseL39bsrgeam_wf_per_row_multipass_2_3_kernelILj256ELj3ELj64EfEEv20rocsparse_direction_iiiNS_24const_host_device_scalarIT2_EEPKiS6_PKS3_S4_S6_S6_S8_S6_PiPS3_21rocsparse_index_base_SB_SB_b.kd
    .uniform_work_group_size: 1
    .uses_dynamic_stack: false
    .vgpr_count:     53
    .vgpr_spill_count: 0
    .wavefront_size: 32
    .workgroup_processor_mode: 1
  - .args:
      - .offset:         0
        .size:           4
        .value_kind:     by_value
      - .offset:         4
        .size:           4
        .value_kind:     by_value
      - .offset:         8
        .size:           4
        .value_kind:     by_value
      - .offset:         12
        .size:           4
        .value_kind:     by_value
      - .offset:         16
        .size:           8
        .value_kind:     by_value
      - .actual_access:  read_only
        .address_space:  global
        .offset:         24
        .size:           8
        .value_kind:     global_buffer
      - .actual_access:  read_only
        .address_space:  global
        .offset:         32
        .size:           8
        .value_kind:     global_buffer
      - .actual_access:  read_only
        .address_space:  global
        .offset:         40
        .size:           8
        .value_kind:     global_buffer
      - .offset:         48
        .size:           8
        .value_kind:     by_value
      - .actual_access:  read_only
        .address_space:  global
        .offset:         56
        .size:           8
        .value_kind:     global_buffer
      - .actual_access:  read_only
        .address_space:  global
        .offset:         64
        .size:           8
        .value_kind:     global_buffer
      - .actual_access:  read_only
        .address_space:  global
        .offset:         72
        .size:           8
        .value_kind:     global_buffer
      - .actual_access:  read_only
        .address_space:  global
        .offset:         80
        .size:           8
        .value_kind:     global_buffer
      - .actual_access:  write_only
        .address_space:  global
        .offset:         88
        .size:           8
        .value_kind:     global_buffer
      - .actual_access:  write_only
        .address_space:  global
        .offset:         96
        .size:           8
        .value_kind:     global_buffer
      - .offset:         104
        .size:           4
        .value_kind:     by_value
      - .offset:         108
        .size:           4
        .value_kind:     by_value
      - .offset:         112
        .size:           4
        .value_kind:     by_value
      - .offset:         116
        .size:           1
        .value_kind:     by_value
    .group_segment_fixed_size: 288
    .kernarg_segment_align: 8
    .kernarg_segment_size: 120
    .language:       OpenCL C
    .language_version:
      - 2
      - 0
    .max_flat_workgroup_size: 64
    .name:           _ZN9rocsparseL35bsrgeam_wf_per_row_multipass_kernelILj64ELj4EfEEv20rocsparse_direction_iiiNS_24const_host_device_scalarIT1_EEPKiS6_PKS3_S4_S6_S6_S8_S6_PiPS3_21rocsparse_index_base_SB_SB_b
    .private_segment_fixed_size: 0
    .sgpr_count:     32
    .sgpr_spill_count: 0
    .symbol:         _ZN9rocsparseL35bsrgeam_wf_per_row_multipass_kernelILj64ELj4EfEEv20rocsparse_direction_iiiNS_24const_host_device_scalarIT1_EEPKiS6_PKS3_S4_S6_S6_S8_S6_PiPS3_21rocsparse_index_base_SB_SB_b.kd
    .uniform_work_group_size: 1
    .uses_dynamic_stack: false
    .vgpr_count:     28
    .vgpr_spill_count: 0
    .wavefront_size: 32
    .workgroup_processor_mode: 1
  - .args:
      - .offset:         0
        .size:           4
        .value_kind:     by_value
      - .offset:         4
        .size:           4
        .value_kind:     by_value
      - .offset:         8
        .size:           4
        .value_kind:     by_value
      - .offset:         12
        .size:           4
        .value_kind:     by_value
      - .offset:         16
        .size:           8
        .value_kind:     by_value
      - .actual_access:  read_only
        .address_space:  global
        .offset:         24
        .size:           8
        .value_kind:     global_buffer
      - .actual_access:  read_only
        .address_space:  global
        .offset:         32
        .size:           8
        .value_kind:     global_buffer
      - .actual_access:  read_only
        .address_space:  global
        .offset:         40
        .size:           8
        .value_kind:     global_buffer
      - .offset:         48
        .size:           8
        .value_kind:     by_value
      - .actual_access:  read_only
        .address_space:  global
        .offset:         56
        .size:           8
        .value_kind:     global_buffer
      - .actual_access:  read_only
        .address_space:  global
        .offset:         64
        .size:           8
        .value_kind:     global_buffer
      - .actual_access:  read_only
        .address_space:  global
        .offset:         72
        .size:           8
        .value_kind:     global_buffer
      - .actual_access:  read_only
        .address_space:  global
        .offset:         80
        .size:           8
        .value_kind:     global_buffer
      - .actual_access:  write_only
        .address_space:  global
        .offset:         88
        .size:           8
        .value_kind:     global_buffer
      - .actual_access:  write_only
        .address_space:  global
        .offset:         96
        .size:           8
        .value_kind:     global_buffer
      - .offset:         104
        .size:           4
        .value_kind:     by_value
      - .offset:         108
        .size:           4
        .value_kind:     by_value
      - .offset:         112
        .size:           4
        .value_kind:     by_value
      - .offset:         116
        .size:           1
        .value_kind:     by_value
    .group_segment_fixed_size: 264
    .kernarg_segment_align: 8
    .kernarg_segment_size: 120
    .language:       OpenCL C
    .language_version:
      - 2
      - 0
    .max_flat_workgroup_size: 64
    .name:           _ZN9rocsparseL35bsrgeam_wf_per_row_multipass_kernelILj64ELj8EfEEv20rocsparse_direction_iiiNS_24const_host_device_scalarIT1_EEPKiS6_PKS3_S4_S6_S6_S8_S6_PiPS3_21rocsparse_index_base_SB_SB_b
    .private_segment_fixed_size: 0
    .sgpr_count:     30
    .sgpr_spill_count: 0
    .symbol:         _ZN9rocsparseL35bsrgeam_wf_per_row_multipass_kernelILj64ELj8EfEEv20rocsparse_direction_iiiNS_24const_host_device_scalarIT1_EEPKiS6_PKS3_S4_S6_S6_S8_S6_PiPS3_21rocsparse_index_base_SB_SB_b.kd
    .uniform_work_group_size: 1
    .uses_dynamic_stack: false
    .vgpr_count:     27
    .vgpr_spill_count: 0
    .wavefront_size: 32
    .workgroup_processor_mode: 1
  - .args:
      - .offset:         0
        .size:           4
        .value_kind:     by_value
      - .offset:         4
        .size:           4
        .value_kind:     by_value
      - .offset:         8
        .size:           4
        .value_kind:     by_value
      - .offset:         12
        .size:           4
        .value_kind:     by_value
      - .offset:         16
        .size:           8
        .value_kind:     by_value
      - .actual_access:  read_only
        .address_space:  global
        .offset:         24
        .size:           8
        .value_kind:     global_buffer
      - .actual_access:  read_only
        .address_space:  global
        .offset:         32
        .size:           8
        .value_kind:     global_buffer
      - .actual_access:  read_only
        .address_space:  global
        .offset:         40
        .size:           8
        .value_kind:     global_buffer
      - .offset:         48
        .size:           8
        .value_kind:     by_value
      - .actual_access:  read_only
        .address_space:  global
        .offset:         56
        .size:           8
        .value_kind:     global_buffer
      - .actual_access:  read_only
        .address_space:  global
        .offset:         64
        .size:           8
        .value_kind:     global_buffer
      - .actual_access:  read_only
        .address_space:  global
        .offset:         72
        .size:           8
        .value_kind:     global_buffer
      - .actual_access:  read_only
        .address_space:  global
        .offset:         80
        .size:           8
        .value_kind:     global_buffer
      - .actual_access:  write_only
        .address_space:  global
        .offset:         88
        .size:           8
        .value_kind:     global_buffer
      - .actual_access:  write_only
        .address_space:  global
        .offset:         96
        .size:           8
        .value_kind:     global_buffer
      - .offset:         104
        .size:           4
        .value_kind:     by_value
      - .offset:         108
        .size:           4
        .value_kind:     by_value
      - .offset:         112
        .size:           4
        .value_kind:     by_value
      - .offset:         116
        .size:           1
        .value_kind:     by_value
    .group_segment_fixed_size: 1028
    .kernarg_segment_align: 8
    .kernarg_segment_size: 120
    .language:       OpenCL C
    .language_version:
      - 2
      - 0
    .max_flat_workgroup_size: 256
    .name:           _ZN9rocsparseL39bsrgeam_block_per_row_multipass_kernel2ILj256ELj16EfEEv20rocsparse_direction_iiiNS_24const_host_device_scalarIT1_EEPKiS6_PKS3_S4_S6_S6_S8_S6_PiPS3_21rocsparse_index_base_SB_SB_b
    .private_segment_fixed_size: 0
    .sgpr_count:     38
    .sgpr_spill_count: 0
    .symbol:         _ZN9rocsparseL39bsrgeam_block_per_row_multipass_kernel2ILj256ELj16EfEEv20rocsparse_direction_iiiNS_24const_host_device_scalarIT1_EEPKiS6_PKS3_S4_S6_S6_S8_S6_PiPS3_21rocsparse_index_base_SB_SB_b.kd
    .uniform_work_group_size: 1
    .uses_dynamic_stack: false
    .vgpr_count:     21
    .vgpr_spill_count: 0
    .wavefront_size: 32
    .workgroup_processor_mode: 1
  - .args:
      - .offset:         0
        .size:           4
        .value_kind:     by_value
      - .offset:         4
        .size:           4
        .value_kind:     by_value
      - .offset:         8
        .size:           4
        .value_kind:     by_value
      - .offset:         12
        .size:           4
        .value_kind:     by_value
      - .offset:         16
        .size:           8
        .value_kind:     by_value
      - .actual_access:  read_only
        .address_space:  global
        .offset:         24
        .size:           8
        .value_kind:     global_buffer
      - .actual_access:  read_only
        .address_space:  global
        .offset:         32
        .size:           8
        .value_kind:     global_buffer
      - .actual_access:  read_only
        .address_space:  global
        .offset:         40
        .size:           8
        .value_kind:     global_buffer
      - .offset:         48
        .size:           8
        .value_kind:     by_value
      - .actual_access:  read_only
        .address_space:  global
        .offset:         56
        .size:           8
        .value_kind:     global_buffer
      - .actual_access:  read_only
        .address_space:  global
        .offset:         64
        .size:           8
        .value_kind:     global_buffer
      - .actual_access:  read_only
        .address_space:  global
        .offset:         72
        .size:           8
        .value_kind:     global_buffer
      - .actual_access:  read_only
        .address_space:  global
        .offset:         80
        .size:           8
        .value_kind:     global_buffer
      - .actual_access:  write_only
        .address_space:  global
        .offset:         88
        .size:           8
        .value_kind:     global_buffer
      - .actual_access:  write_only
        .address_space:  global
        .offset:         96
        .size:           8
        .value_kind:     global_buffer
      - .offset:         104
        .size:           4
        .value_kind:     by_value
      - .offset:         108
        .size:           4
        .value_kind:     by_value
      - .offset:         112
        .size:           4
        .value_kind:     by_value
      - .offset:         116
        .size:           1
        .value_kind:     by_value
    .group_segment_fixed_size: 4100
    .kernarg_segment_align: 8
    .kernarg_segment_size: 120
    .language:       OpenCL C
    .language_version:
      - 2
      - 0
    .max_flat_workgroup_size: 256
    .name:           _ZN9rocsparseL39bsrgeam_block_per_row_multipass_kernel2ILj256ELj32EfEEv20rocsparse_direction_iiiNS_24const_host_device_scalarIT1_EEPKiS6_PKS3_S4_S6_S6_S8_S6_PiPS3_21rocsparse_index_base_SB_SB_b
    .private_segment_fixed_size: 0
    .sgpr_count:     41
    .sgpr_spill_count: 0
    .symbol:         _ZN9rocsparseL39bsrgeam_block_per_row_multipass_kernel2ILj256ELj32EfEEv20rocsparse_direction_iiiNS_24const_host_device_scalarIT1_EEPKiS6_PKS3_S4_S6_S6_S8_S6_PiPS3_21rocsparse_index_base_SB_SB_b.kd
    .uniform_work_group_size: 1
    .uses_dynamic_stack: false
    .vgpr_count:     26
    .vgpr_spill_count: 0
    .wavefront_size: 32
    .workgroup_processor_mode: 1
  - .args:
      - .offset:         0
        .size:           4
        .value_kind:     by_value
      - .offset:         4
        .size:           4
        .value_kind:     by_value
      - .offset:         8
        .size:           4
        .value_kind:     by_value
      - .offset:         12
        .size:           4
        .value_kind:     by_value
      - .offset:         16
        .size:           8
        .value_kind:     by_value
      - .actual_access:  read_only
        .address_space:  global
        .offset:         24
        .size:           8
        .value_kind:     global_buffer
      - .actual_access:  read_only
        .address_space:  global
        .offset:         32
        .size:           8
        .value_kind:     global_buffer
      - .actual_access:  read_only
        .address_space:  global
        .offset:         40
        .size:           8
        .value_kind:     global_buffer
      - .offset:         48
        .size:           8
        .value_kind:     by_value
      - .actual_access:  read_only
        .address_space:  global
        .offset:         56
        .size:           8
        .value_kind:     global_buffer
      - .actual_access:  read_only
        .address_space:  global
        .offset:         64
        .size:           8
        .value_kind:     global_buffer
      - .actual_access:  read_only
        .address_space:  global
        .offset:         72
        .size:           8
        .value_kind:     global_buffer
      - .actual_access:  read_only
        .address_space:  global
        .offset:         80
        .size:           8
        .value_kind:     global_buffer
      - .actual_access:  write_only
        .address_space:  global
        .offset:         88
        .size:           8
        .value_kind:     global_buffer
      - .actual_access:  write_only
        .address_space:  global
        .offset:         96
        .size:           8
        .value_kind:     global_buffer
      - .offset:         104
        .size:           4
        .value_kind:     by_value
      - .offset:         108
        .size:           4
        .value_kind:     by_value
      - .offset:         112
        .size:           4
        .value_kind:     by_value
      - .offset:         116
        .size:           1
        .value_kind:     by_value
    .group_segment_fixed_size: 8448
    .kernarg_segment_align: 8
    .kernarg_segment_size: 120
    .language:       OpenCL C
    .language_version:
      - 2
      - 0
    .max_flat_workgroup_size: 256
    .name:           _ZN9rocsparseL39bsrgeam_wf_per_row_multipass_2_3_kernelILj256ELj2ELj32EdEEv20rocsparse_direction_iiiNS_24const_host_device_scalarIT2_EEPKiS6_PKS3_S4_S6_S6_S8_S6_PiPS3_21rocsparse_index_base_SB_SB_b
    .private_segment_fixed_size: 0
    .sgpr_count:     30
    .sgpr_spill_count: 0
    .symbol:         _ZN9rocsparseL39bsrgeam_wf_per_row_multipass_2_3_kernelILj256ELj2ELj32EdEEv20rocsparse_direction_iiiNS_24const_host_device_scalarIT2_EEPKiS6_PKS3_S4_S6_S6_S8_S6_PiPS3_21rocsparse_index_base_SB_SB_b.kd
    .uniform_work_group_size: 1
    .uses_dynamic_stack: false
    .vgpr_count:     45
    .vgpr_spill_count: 0
    .wavefront_size: 32
    .workgroup_processor_mode: 1
  - .args:
      - .offset:         0
        .size:           4
        .value_kind:     by_value
      - .offset:         4
        .size:           4
        .value_kind:     by_value
      - .offset:         8
        .size:           4
        .value_kind:     by_value
      - .offset:         12
        .size:           4
        .value_kind:     by_value
      - .offset:         16
        .size:           8
        .value_kind:     by_value
      - .actual_access:  read_only
        .address_space:  global
        .offset:         24
        .size:           8
        .value_kind:     global_buffer
      - .actual_access:  read_only
        .address_space:  global
        .offset:         32
        .size:           8
        .value_kind:     global_buffer
      - .actual_access:  read_only
        .address_space:  global
        .offset:         40
        .size:           8
        .value_kind:     global_buffer
      - .offset:         48
        .size:           8
        .value_kind:     by_value
      - .actual_access:  read_only
        .address_space:  global
        .offset:         56
        .size:           8
        .value_kind:     global_buffer
      - .actual_access:  read_only
        .address_space:  global
        .offset:         64
        .size:           8
        .value_kind:     global_buffer
      - .actual_access:  read_only
        .address_space:  global
        .offset:         72
        .size:           8
        .value_kind:     global_buffer
      - .actual_access:  read_only
        .address_space:  global
        .offset:         80
        .size:           8
        .value_kind:     global_buffer
      - .actual_access:  write_only
        .address_space:  global
        .offset:         88
        .size:           8
        .value_kind:     global_buffer
      - .actual_access:  write_only
        .address_space:  global
        .offset:         96
        .size:           8
        .value_kind:     global_buffer
      - .offset:         104
        .size:           4
        .value_kind:     by_value
      - .offset:         108
        .size:           4
        .value_kind:     by_value
      - .offset:         112
        .size:           4
        .value_kind:     by_value
      - .offset:         116
        .size:           1
        .value_kind:     by_value
    .group_segment_fixed_size: 8448
    .kernarg_segment_align: 8
    .kernarg_segment_size: 120
    .language:       OpenCL C
    .language_version:
      - 2
      - 0
    .max_flat_workgroup_size: 256
    .name:           _ZN9rocsparseL39bsrgeam_wf_per_row_multipass_2_3_kernelILj256ELj2ELj64EdEEv20rocsparse_direction_iiiNS_24const_host_device_scalarIT2_EEPKiS6_PKS3_S4_S6_S6_S8_S6_PiPS3_21rocsparse_index_base_SB_SB_b
    .private_segment_fixed_size: 0
    .sgpr_count:     30
    .sgpr_spill_count: 0
    .symbol:         _ZN9rocsparseL39bsrgeam_wf_per_row_multipass_2_3_kernelILj256ELj2ELj64EdEEv20rocsparse_direction_iiiNS_24const_host_device_scalarIT2_EEPKiS6_PKS3_S4_S6_S6_S8_S6_PiPS3_21rocsparse_index_base_SB_SB_b.kd
    .uniform_work_group_size: 1
    .uses_dynamic_stack: false
    .vgpr_count:     46
    .vgpr_spill_count: 0
    .wavefront_size: 32
    .workgroup_processor_mode: 1
  - .args:
      - .offset:         0
        .size:           4
        .value_kind:     by_value
      - .offset:         4
        .size:           4
        .value_kind:     by_value
      - .offset:         8
        .size:           4
        .value_kind:     by_value
      - .offset:         12
        .size:           4
        .value_kind:     by_value
      - .offset:         16
        .size:           8
        .value_kind:     by_value
      - .actual_access:  read_only
        .address_space:  global
        .offset:         24
        .size:           8
        .value_kind:     global_buffer
      - .actual_access:  read_only
        .address_space:  global
        .offset:         32
        .size:           8
        .value_kind:     global_buffer
      - .actual_access:  read_only
        .address_space:  global
        .offset:         40
        .size:           8
        .value_kind:     global_buffer
      - .offset:         48
        .size:           8
        .value_kind:     by_value
      - .actual_access:  read_only
        .address_space:  global
        .offset:         56
        .size:           8
        .value_kind:     global_buffer
      - .actual_access:  read_only
        .address_space:  global
        .offset:         64
        .size:           8
        .value_kind:     global_buffer
      - .actual_access:  read_only
        .address_space:  global
        .offset:         72
        .size:           8
        .value_kind:     global_buffer
      - .actual_access:  read_only
        .address_space:  global
        .offset:         80
        .size:           8
        .value_kind:     global_buffer
      - .actual_access:  write_only
        .address_space:  global
        .offset:         88
        .size:           8
        .value_kind:     global_buffer
      - .actual_access:  write_only
        .address_space:  global
        .offset:         96
        .size:           8
        .value_kind:     global_buffer
      - .offset:         104
        .size:           4
        .value_kind:     by_value
      - .offset:         108
        .size:           4
        .value_kind:     by_value
      - .offset:         112
        .size:           4
        .value_kind:     by_value
      - .offset:         116
        .size:           1
        .value_kind:     by_value
    .group_segment_fixed_size: 18688
    .kernarg_segment_align: 8
    .kernarg_segment_size: 120
    .language:       OpenCL C
    .language_version:
      - 2
      - 0
    .max_flat_workgroup_size: 256
    .name:           _ZN9rocsparseL39bsrgeam_wf_per_row_multipass_2_3_kernelILj256ELj3ELj32EdEEv20rocsparse_direction_iiiNS_24const_host_device_scalarIT2_EEPKiS6_PKS3_S4_S6_S6_S8_S6_PiPS3_21rocsparse_index_base_SB_SB_b
    .private_segment_fixed_size: 0
    .sgpr_count:     30
    .sgpr_spill_count: 0
    .symbol:         _ZN9rocsparseL39bsrgeam_wf_per_row_multipass_2_3_kernelILj256ELj3ELj32EdEEv20rocsparse_direction_iiiNS_24const_host_device_scalarIT2_EEPKiS6_PKS3_S4_S6_S6_S8_S6_PiPS3_21rocsparse_index_base_SB_SB_b.kd
    .uniform_work_group_size: 1
    .uses_dynamic_stack: false
    .vgpr_count:     78
    .vgpr_spill_count: 0
    .wavefront_size: 32
    .workgroup_processor_mode: 1
  - .args:
      - .offset:         0
        .size:           4
        .value_kind:     by_value
      - .offset:         4
        .size:           4
        .value_kind:     by_value
      - .offset:         8
        .size:           4
        .value_kind:     by_value
      - .offset:         12
        .size:           4
        .value_kind:     by_value
      - .offset:         16
        .size:           8
        .value_kind:     by_value
      - .actual_access:  read_only
        .address_space:  global
        .offset:         24
        .size:           8
        .value_kind:     global_buffer
      - .actual_access:  read_only
        .address_space:  global
        .offset:         32
        .size:           8
        .value_kind:     global_buffer
      - .actual_access:  read_only
        .address_space:  global
        .offset:         40
        .size:           8
        .value_kind:     global_buffer
      - .offset:         48
        .size:           8
        .value_kind:     by_value
      - .actual_access:  read_only
        .address_space:  global
        .offset:         56
        .size:           8
        .value_kind:     global_buffer
      - .actual_access:  read_only
        .address_space:  global
        .offset:         64
        .size:           8
        .value_kind:     global_buffer
      - .actual_access:  read_only
        .address_space:  global
        .offset:         72
        .size:           8
        .value_kind:     global_buffer
      - .actual_access:  read_only
        .address_space:  global
        .offset:         80
        .size:           8
        .value_kind:     global_buffer
      - .actual_access:  write_only
        .address_space:  global
        .offset:         88
        .size:           8
        .value_kind:     global_buffer
      - .actual_access:  write_only
        .address_space:  global
        .offset:         96
        .size:           8
        .value_kind:     global_buffer
      - .offset:         104
        .size:           4
        .value_kind:     by_value
      - .offset:         108
        .size:           4
        .value_kind:     by_value
      - .offset:         112
        .size:           4
        .value_kind:     by_value
      - .offset:         116
        .size:           1
        .value_kind:     by_value
    .group_segment_fixed_size: 18688
    .kernarg_segment_align: 8
    .kernarg_segment_size: 120
    .language:       OpenCL C
    .language_version:
      - 2
      - 0
    .max_flat_workgroup_size: 256
    .name:           _ZN9rocsparseL39bsrgeam_wf_per_row_multipass_2_3_kernelILj256ELj3ELj64EdEEv20rocsparse_direction_iiiNS_24const_host_device_scalarIT2_EEPKiS6_PKS3_S4_S6_S6_S8_S6_PiPS3_21rocsparse_index_base_SB_SB_b
    .private_segment_fixed_size: 0
    .sgpr_count:     30
    .sgpr_spill_count: 0
    .symbol:         _ZN9rocsparseL39bsrgeam_wf_per_row_multipass_2_3_kernelILj256ELj3ELj64EdEEv20rocsparse_direction_iiiNS_24const_host_device_scalarIT2_EEPKiS6_PKS3_S4_S6_S6_S8_S6_PiPS3_21rocsparse_index_base_SB_SB_b.kd
    .uniform_work_group_size: 1
    .uses_dynamic_stack: false
    .vgpr_count:     80
    .vgpr_spill_count: 0
    .wavefront_size: 32
    .workgroup_processor_mode: 1
  - .args:
      - .offset:         0
        .size:           4
        .value_kind:     by_value
      - .offset:         4
        .size:           4
        .value_kind:     by_value
      - .offset:         8
        .size:           4
        .value_kind:     by_value
      - .offset:         12
        .size:           4
        .value_kind:     by_value
      - .offset:         16
        .size:           8
        .value_kind:     by_value
      - .actual_access:  read_only
        .address_space:  global
        .offset:         24
        .size:           8
        .value_kind:     global_buffer
      - .actual_access:  read_only
        .address_space:  global
        .offset:         32
        .size:           8
        .value_kind:     global_buffer
      - .actual_access:  read_only
        .address_space:  global
        .offset:         40
        .size:           8
        .value_kind:     global_buffer
      - .offset:         48
        .size:           8
        .value_kind:     by_value
      - .actual_access:  read_only
        .address_space:  global
        .offset:         56
        .size:           8
        .value_kind:     global_buffer
      - .actual_access:  read_only
        .address_space:  global
        .offset:         64
        .size:           8
        .value_kind:     global_buffer
      - .actual_access:  read_only
        .address_space:  global
        .offset:         72
        .size:           8
        .value_kind:     global_buffer
      - .actual_access:  read_only
        .address_space:  global
        .offset:         80
        .size:           8
        .value_kind:     global_buffer
      - .actual_access:  write_only
        .address_space:  global
        .offset:         88
        .size:           8
        .value_kind:     global_buffer
      - .actual_access:  write_only
        .address_space:  global
        .offset:         96
        .size:           8
        .value_kind:     global_buffer
      - .offset:         104
        .size:           4
        .value_kind:     by_value
      - .offset:         108
        .size:           4
        .value_kind:     by_value
      - .offset:         112
        .size:           4
        .value_kind:     by_value
      - .offset:         116
        .size:           1
        .value_kind:     by_value
    .group_segment_fixed_size: 544
    .kernarg_segment_align: 8
    .kernarg_segment_size: 120
    .language:       OpenCL C
    .language_version:
      - 2
      - 0
    .max_flat_workgroup_size: 64
    .name:           _ZN9rocsparseL35bsrgeam_wf_per_row_multipass_kernelILj64ELj4EdEEv20rocsparse_direction_iiiNS_24const_host_device_scalarIT1_EEPKiS6_PKS3_S4_S6_S6_S8_S6_PiPS3_21rocsparse_index_base_SB_SB_b
    .private_segment_fixed_size: 0
    .sgpr_count:     30
    .sgpr_spill_count: 0
    .symbol:         _ZN9rocsparseL35bsrgeam_wf_per_row_multipass_kernelILj64ELj4EdEEv20rocsparse_direction_iiiNS_24const_host_device_scalarIT1_EEPKiS6_PKS3_S4_S6_S6_S8_S6_PiPS3_21rocsparse_index_base_SB_SB_b.kd
    .uniform_work_group_size: 1
    .uses_dynamic_stack: false
    .vgpr_count:     35
    .vgpr_spill_count: 0
    .wavefront_size: 32
    .workgroup_processor_mode: 1
  - .args:
      - .offset:         0
        .size:           4
        .value_kind:     by_value
      - .offset:         4
        .size:           4
        .value_kind:     by_value
      - .offset:         8
        .size:           4
        .value_kind:     by_value
      - .offset:         12
        .size:           4
        .value_kind:     by_value
      - .offset:         16
        .size:           8
        .value_kind:     by_value
      - .actual_access:  read_only
        .address_space:  global
        .offset:         24
        .size:           8
        .value_kind:     global_buffer
      - .actual_access:  read_only
        .address_space:  global
        .offset:         32
        .size:           8
        .value_kind:     global_buffer
      - .actual_access:  read_only
        .address_space:  global
        .offset:         40
        .size:           8
        .value_kind:     global_buffer
      - .offset:         48
        .size:           8
        .value_kind:     by_value
      - .actual_access:  read_only
        .address_space:  global
        .offset:         56
        .size:           8
        .value_kind:     global_buffer
      - .actual_access:  read_only
        .address_space:  global
        .offset:         64
        .size:           8
        .value_kind:     global_buffer
      - .actual_access:  read_only
        .address_space:  global
        .offset:         72
        .size:           8
        .value_kind:     global_buffer
      - .actual_access:  read_only
        .address_space:  global
        .offset:         80
        .size:           8
        .value_kind:     global_buffer
      - .actual_access:  write_only
        .address_space:  global
        .offset:         88
        .size:           8
        .value_kind:     global_buffer
      - .actual_access:  write_only
        .address_space:  global
        .offset:         96
        .size:           8
        .value_kind:     global_buffer
      - .offset:         104
        .size:           4
        .value_kind:     by_value
      - .offset:         108
        .size:           4
        .value_kind:     by_value
      - .offset:         112
        .size:           4
        .value_kind:     by_value
      - .offset:         116
        .size:           1
        .value_kind:     by_value
    .group_segment_fixed_size: 520
    .kernarg_segment_align: 8
    .kernarg_segment_size: 120
    .language:       OpenCL C
    .language_version:
      - 2
      - 0
    .max_flat_workgroup_size: 64
    .name:           _ZN9rocsparseL35bsrgeam_wf_per_row_multipass_kernelILj64ELj8EdEEv20rocsparse_direction_iiiNS_24const_host_device_scalarIT1_EEPKiS6_PKS3_S4_S6_S6_S8_S6_PiPS3_21rocsparse_index_base_SB_SB_b
    .private_segment_fixed_size: 0
    .sgpr_count:     28
    .sgpr_spill_count: 0
    .symbol:         _ZN9rocsparseL35bsrgeam_wf_per_row_multipass_kernelILj64ELj8EdEEv20rocsparse_direction_iiiNS_24const_host_device_scalarIT1_EEPKiS6_PKS3_S4_S6_S6_S8_S6_PiPS3_21rocsparse_index_base_SB_SB_b.kd
    .uniform_work_group_size: 1
    .uses_dynamic_stack: false
    .vgpr_count:     34
    .vgpr_spill_count: 0
    .wavefront_size: 32
    .workgroup_processor_mode: 1
  - .args:
      - .offset:         0
        .size:           4
        .value_kind:     by_value
      - .offset:         4
        .size:           4
        .value_kind:     by_value
      - .offset:         8
        .size:           4
        .value_kind:     by_value
      - .offset:         12
        .size:           4
        .value_kind:     by_value
      - .offset:         16
        .size:           8
        .value_kind:     by_value
      - .actual_access:  read_only
        .address_space:  global
        .offset:         24
        .size:           8
        .value_kind:     global_buffer
      - .actual_access:  read_only
        .address_space:  global
        .offset:         32
        .size:           8
        .value_kind:     global_buffer
      - .actual_access:  read_only
        .address_space:  global
        .offset:         40
        .size:           8
        .value_kind:     global_buffer
      - .offset:         48
        .size:           8
        .value_kind:     by_value
      - .actual_access:  read_only
        .address_space:  global
        .offset:         56
        .size:           8
        .value_kind:     global_buffer
      - .actual_access:  read_only
        .address_space:  global
        .offset:         64
        .size:           8
        .value_kind:     global_buffer
      - .actual_access:  read_only
        .address_space:  global
        .offset:         72
        .size:           8
        .value_kind:     global_buffer
      - .actual_access:  read_only
        .address_space:  global
        .offset:         80
        .size:           8
        .value_kind:     global_buffer
      - .actual_access:  write_only
        .address_space:  global
        .offset:         88
        .size:           8
        .value_kind:     global_buffer
      - .actual_access:  write_only
        .address_space:  global
        .offset:         96
        .size:           8
        .value_kind:     global_buffer
      - .offset:         104
        .size:           4
        .value_kind:     by_value
      - .offset:         108
        .size:           4
        .value_kind:     by_value
      - .offset:         112
        .size:           4
        .value_kind:     by_value
      - .offset:         116
        .size:           1
        .value_kind:     by_value
    .group_segment_fixed_size: 2056
    .kernarg_segment_align: 8
    .kernarg_segment_size: 120
    .language:       OpenCL C
    .language_version:
      - 2
      - 0
    .max_flat_workgroup_size: 256
    .name:           _ZN9rocsparseL39bsrgeam_block_per_row_multipass_kernel2ILj256ELj16EdEEv20rocsparse_direction_iiiNS_24const_host_device_scalarIT1_EEPKiS6_PKS3_S4_S6_S6_S8_S6_PiPS3_21rocsparse_index_base_SB_SB_b
    .private_segment_fixed_size: 0
    .sgpr_count:     32
    .sgpr_spill_count: 0
    .symbol:         _ZN9rocsparseL39bsrgeam_block_per_row_multipass_kernel2ILj256ELj16EdEEv20rocsparse_direction_iiiNS_24const_host_device_scalarIT1_EEPKiS6_PKS3_S4_S6_S6_S8_S6_PiPS3_21rocsparse_index_base_SB_SB_b.kd
    .uniform_work_group_size: 1
    .uses_dynamic_stack: false
    .vgpr_count:     28
    .vgpr_spill_count: 0
    .wavefront_size: 32
    .workgroup_processor_mode: 1
  - .args:
      - .offset:         0
        .size:           4
        .value_kind:     by_value
      - .offset:         4
        .size:           4
        .value_kind:     by_value
      - .offset:         8
        .size:           4
        .value_kind:     by_value
      - .offset:         12
        .size:           4
        .value_kind:     by_value
      - .offset:         16
        .size:           8
        .value_kind:     by_value
      - .actual_access:  read_only
        .address_space:  global
        .offset:         24
        .size:           8
        .value_kind:     global_buffer
      - .actual_access:  read_only
        .address_space:  global
        .offset:         32
        .size:           8
        .value_kind:     global_buffer
      - .actual_access:  read_only
        .address_space:  global
        .offset:         40
        .size:           8
        .value_kind:     global_buffer
      - .offset:         48
        .size:           8
        .value_kind:     by_value
      - .actual_access:  read_only
        .address_space:  global
        .offset:         56
        .size:           8
        .value_kind:     global_buffer
      - .actual_access:  read_only
        .address_space:  global
        .offset:         64
        .size:           8
        .value_kind:     global_buffer
      - .actual_access:  read_only
        .address_space:  global
        .offset:         72
        .size:           8
        .value_kind:     global_buffer
      - .actual_access:  read_only
        .address_space:  global
        .offset:         80
        .size:           8
        .value_kind:     global_buffer
      - .actual_access:  write_only
        .address_space:  global
        .offset:         88
        .size:           8
        .value_kind:     global_buffer
      - .actual_access:  write_only
        .address_space:  global
        .offset:         96
        .size:           8
        .value_kind:     global_buffer
      - .offset:         104
        .size:           4
        .value_kind:     by_value
      - .offset:         108
        .size:           4
        .value_kind:     by_value
      - .offset:         112
        .size:           4
        .value_kind:     by_value
      - .offset:         116
        .size:           1
        .value_kind:     by_value
    .group_segment_fixed_size: 8200
    .kernarg_segment_align: 8
    .kernarg_segment_size: 120
    .language:       OpenCL C
    .language_version:
      - 2
      - 0
    .max_flat_workgroup_size: 256
    .name:           _ZN9rocsparseL39bsrgeam_block_per_row_multipass_kernel2ILj256ELj32EdEEv20rocsparse_direction_iiiNS_24const_host_device_scalarIT1_EEPKiS6_PKS3_S4_S6_S6_S8_S6_PiPS3_21rocsparse_index_base_SB_SB_b
    .private_segment_fixed_size: 0
    .sgpr_count:     39
    .sgpr_spill_count: 0
    .symbol:         _ZN9rocsparseL39bsrgeam_block_per_row_multipass_kernel2ILj256ELj32EdEEv20rocsparse_direction_iiiNS_24const_host_device_scalarIT1_EEPKiS6_PKS3_S4_S6_S6_S8_S6_PiPS3_21rocsparse_index_base_SB_SB_b.kd
    .uniform_work_group_size: 1
    .uses_dynamic_stack: false
    .vgpr_count:     34
    .vgpr_spill_count: 0
    .wavefront_size: 32
    .workgroup_processor_mode: 1
  - .args:
      - .offset:         0
        .size:           4
        .value_kind:     by_value
      - .offset:         4
        .size:           4
        .value_kind:     by_value
      - .offset:         8
        .size:           4
        .value_kind:     by_value
      - .offset:         12
        .size:           4
        .value_kind:     by_value
      - .offset:         16
        .size:           8
        .value_kind:     by_value
      - .actual_access:  read_only
        .address_space:  global
        .offset:         24
        .size:           8
        .value_kind:     global_buffer
      - .actual_access:  read_only
        .address_space:  global
        .offset:         32
        .size:           8
        .value_kind:     global_buffer
      - .actual_access:  read_only
        .address_space:  global
        .offset:         40
        .size:           8
        .value_kind:     global_buffer
      - .offset:         48
        .size:           8
        .value_kind:     by_value
      - .actual_access:  read_only
        .address_space:  global
        .offset:         56
        .size:           8
        .value_kind:     global_buffer
      - .actual_access:  read_only
        .address_space:  global
        .offset:         64
        .size:           8
        .value_kind:     global_buffer
      - .actual_access:  read_only
        .address_space:  global
        .offset:         72
        .size:           8
        .value_kind:     global_buffer
      - .actual_access:  read_only
        .address_space:  global
        .offset:         80
        .size:           8
        .value_kind:     global_buffer
      - .actual_access:  write_only
        .address_space:  global
        .offset:         88
        .size:           8
        .value_kind:     global_buffer
      - .actual_access:  write_only
        .address_space:  global
        .offset:         96
        .size:           8
        .value_kind:     global_buffer
      - .offset:         104
        .size:           4
        .value_kind:     by_value
      - .offset:         108
        .size:           4
        .value_kind:     by_value
      - .offset:         112
        .size:           4
        .value_kind:     by_value
      - .offset:         116
        .size:           1
        .value_kind:     by_value
    .group_segment_fixed_size: 8448
    .kernarg_segment_align: 8
    .kernarg_segment_size: 120
    .language:       OpenCL C
    .language_version:
      - 2
      - 0
    .max_flat_workgroup_size: 256
    .name:           _ZN9rocsparseL39bsrgeam_wf_per_row_multipass_2_3_kernelILj256ELj2ELj32E21rocsparse_complex_numIfEEEv20rocsparse_direction_iiiNS_24const_host_device_scalarIT2_EEPKiS8_PKS5_S6_S8_S8_SA_S8_PiPS5_21rocsparse_index_base_SD_SD_b
    .private_segment_fixed_size: 0
    .sgpr_count:     32
    .sgpr_spill_count: 0
    .symbol:         _ZN9rocsparseL39bsrgeam_wf_per_row_multipass_2_3_kernelILj256ELj2ELj32E21rocsparse_complex_numIfEEEv20rocsparse_direction_iiiNS_24const_host_device_scalarIT2_EEPKiS8_PKS5_S6_S8_S8_SA_S8_PiPS5_21rocsparse_index_base_SD_SD_b.kd
    .uniform_work_group_size: 1
    .uses_dynamic_stack: false
    .vgpr_count:     43
    .vgpr_spill_count: 0
    .wavefront_size: 32
    .workgroup_processor_mode: 1
  - .args:
      - .offset:         0
        .size:           4
        .value_kind:     by_value
      - .offset:         4
        .size:           4
        .value_kind:     by_value
      - .offset:         8
        .size:           4
        .value_kind:     by_value
      - .offset:         12
        .size:           4
        .value_kind:     by_value
      - .offset:         16
        .size:           8
        .value_kind:     by_value
      - .actual_access:  read_only
        .address_space:  global
        .offset:         24
        .size:           8
        .value_kind:     global_buffer
      - .actual_access:  read_only
        .address_space:  global
        .offset:         32
        .size:           8
        .value_kind:     global_buffer
      - .actual_access:  read_only
        .address_space:  global
        .offset:         40
        .size:           8
        .value_kind:     global_buffer
      - .offset:         48
        .size:           8
        .value_kind:     by_value
      - .actual_access:  read_only
        .address_space:  global
        .offset:         56
        .size:           8
        .value_kind:     global_buffer
      - .actual_access:  read_only
        .address_space:  global
        .offset:         64
        .size:           8
        .value_kind:     global_buffer
      - .actual_access:  read_only
        .address_space:  global
        .offset:         72
        .size:           8
        .value_kind:     global_buffer
      - .actual_access:  read_only
        .address_space:  global
        .offset:         80
        .size:           8
        .value_kind:     global_buffer
      - .actual_access:  write_only
        .address_space:  global
        .offset:         88
        .size:           8
        .value_kind:     global_buffer
      - .actual_access:  write_only
        .address_space:  global
        .offset:         96
        .size:           8
        .value_kind:     global_buffer
      - .offset:         104
        .size:           4
        .value_kind:     by_value
      - .offset:         108
        .size:           4
        .value_kind:     by_value
      - .offset:         112
        .size:           4
        .value_kind:     by_value
      - .offset:         116
        .size:           1
        .value_kind:     by_value
    .group_segment_fixed_size: 8448
    .kernarg_segment_align: 8
    .kernarg_segment_size: 120
    .language:       OpenCL C
    .language_version:
      - 2
      - 0
    .max_flat_workgroup_size: 256
    .name:           _ZN9rocsparseL39bsrgeam_wf_per_row_multipass_2_3_kernelILj256ELj2ELj64E21rocsparse_complex_numIfEEEv20rocsparse_direction_iiiNS_24const_host_device_scalarIT2_EEPKiS8_PKS5_S6_S8_S8_SA_S8_PiPS5_21rocsparse_index_base_SD_SD_b
    .private_segment_fixed_size: 0
    .sgpr_count:     32
    .sgpr_spill_count: 0
    .symbol:         _ZN9rocsparseL39bsrgeam_wf_per_row_multipass_2_3_kernelILj256ELj2ELj64E21rocsparse_complex_numIfEEEv20rocsparse_direction_iiiNS_24const_host_device_scalarIT2_EEPKiS8_PKS5_S6_S8_S8_SA_S8_PiPS5_21rocsparse_index_base_SD_SD_b.kd
    .uniform_work_group_size: 1
    .uses_dynamic_stack: false
    .vgpr_count:     44
    .vgpr_spill_count: 0
    .wavefront_size: 32
    .workgroup_processor_mode: 1
  - .args:
      - .offset:         0
        .size:           4
        .value_kind:     by_value
      - .offset:         4
        .size:           4
        .value_kind:     by_value
      - .offset:         8
        .size:           4
        .value_kind:     by_value
      - .offset:         12
        .size:           4
        .value_kind:     by_value
      - .offset:         16
        .size:           8
        .value_kind:     by_value
      - .actual_access:  read_only
        .address_space:  global
        .offset:         24
        .size:           8
        .value_kind:     global_buffer
      - .actual_access:  read_only
        .address_space:  global
        .offset:         32
        .size:           8
        .value_kind:     global_buffer
      - .actual_access:  read_only
        .address_space:  global
        .offset:         40
        .size:           8
        .value_kind:     global_buffer
      - .offset:         48
        .size:           8
        .value_kind:     by_value
      - .actual_access:  read_only
        .address_space:  global
        .offset:         56
        .size:           8
        .value_kind:     global_buffer
      - .actual_access:  read_only
        .address_space:  global
        .offset:         64
        .size:           8
        .value_kind:     global_buffer
      - .actual_access:  read_only
        .address_space:  global
        .offset:         72
        .size:           8
        .value_kind:     global_buffer
      - .actual_access:  read_only
        .address_space:  global
        .offset:         80
        .size:           8
        .value_kind:     global_buffer
      - .actual_access:  write_only
        .address_space:  global
        .offset:         88
        .size:           8
        .value_kind:     global_buffer
      - .actual_access:  write_only
        .address_space:  global
        .offset:         96
        .size:           8
        .value_kind:     global_buffer
      - .offset:         104
        .size:           4
        .value_kind:     by_value
      - .offset:         108
        .size:           4
        .value_kind:     by_value
      - .offset:         112
        .size:           4
        .value_kind:     by_value
      - .offset:         116
        .size:           1
        .value_kind:     by_value
    .group_segment_fixed_size: 18688
    .kernarg_segment_align: 8
    .kernarg_segment_size: 120
    .language:       OpenCL C
    .language_version:
      - 2
      - 0
    .max_flat_workgroup_size: 256
    .name:           _ZN9rocsparseL39bsrgeam_wf_per_row_multipass_2_3_kernelILj256ELj3ELj32E21rocsparse_complex_numIfEEEv20rocsparse_direction_iiiNS_24const_host_device_scalarIT2_EEPKiS8_PKS5_S6_S8_S8_SA_S8_PiPS5_21rocsparse_index_base_SD_SD_b
    .private_segment_fixed_size: 0
    .sgpr_count:     34
    .sgpr_spill_count: 0
    .symbol:         _ZN9rocsparseL39bsrgeam_wf_per_row_multipass_2_3_kernelILj256ELj3ELj32E21rocsparse_complex_numIfEEEv20rocsparse_direction_iiiNS_24const_host_device_scalarIT2_EEPKiS8_PKS5_S6_S8_S8_SA_S8_PiPS5_21rocsparse_index_base_SD_SD_b.kd
    .uniform_work_group_size: 1
    .uses_dynamic_stack: false
    .vgpr_count:     76
    .vgpr_spill_count: 0
    .wavefront_size: 32
    .workgroup_processor_mode: 1
  - .args:
      - .offset:         0
        .size:           4
        .value_kind:     by_value
      - .offset:         4
        .size:           4
        .value_kind:     by_value
      - .offset:         8
        .size:           4
        .value_kind:     by_value
      - .offset:         12
        .size:           4
        .value_kind:     by_value
      - .offset:         16
        .size:           8
        .value_kind:     by_value
      - .actual_access:  read_only
        .address_space:  global
        .offset:         24
        .size:           8
        .value_kind:     global_buffer
      - .actual_access:  read_only
        .address_space:  global
        .offset:         32
        .size:           8
        .value_kind:     global_buffer
      - .actual_access:  read_only
        .address_space:  global
        .offset:         40
        .size:           8
        .value_kind:     global_buffer
      - .offset:         48
        .size:           8
        .value_kind:     by_value
      - .actual_access:  read_only
        .address_space:  global
        .offset:         56
        .size:           8
        .value_kind:     global_buffer
      - .actual_access:  read_only
        .address_space:  global
        .offset:         64
        .size:           8
        .value_kind:     global_buffer
      - .actual_access:  read_only
        .address_space:  global
        .offset:         72
        .size:           8
        .value_kind:     global_buffer
      - .actual_access:  read_only
        .address_space:  global
        .offset:         80
        .size:           8
        .value_kind:     global_buffer
      - .actual_access:  write_only
        .address_space:  global
        .offset:         88
        .size:           8
        .value_kind:     global_buffer
      - .actual_access:  write_only
        .address_space:  global
        .offset:         96
        .size:           8
        .value_kind:     global_buffer
      - .offset:         104
        .size:           4
        .value_kind:     by_value
      - .offset:         108
        .size:           4
        .value_kind:     by_value
      - .offset:         112
        .size:           4
        .value_kind:     by_value
      - .offset:         116
        .size:           1
        .value_kind:     by_value
    .group_segment_fixed_size: 18688
    .kernarg_segment_align: 8
    .kernarg_segment_size: 120
    .language:       OpenCL C
    .language_version:
      - 2
      - 0
    .max_flat_workgroup_size: 256
    .name:           _ZN9rocsparseL39bsrgeam_wf_per_row_multipass_2_3_kernelILj256ELj3ELj64E21rocsparse_complex_numIfEEEv20rocsparse_direction_iiiNS_24const_host_device_scalarIT2_EEPKiS8_PKS5_S6_S8_S8_SA_S8_PiPS5_21rocsparse_index_base_SD_SD_b
    .private_segment_fixed_size: 0
    .sgpr_count:     34
    .sgpr_spill_count: 0
    .symbol:         _ZN9rocsparseL39bsrgeam_wf_per_row_multipass_2_3_kernelILj256ELj3ELj64E21rocsparse_complex_numIfEEEv20rocsparse_direction_iiiNS_24const_host_device_scalarIT2_EEPKiS8_PKS5_S6_S8_S8_SA_S8_PiPS5_21rocsparse_index_base_SD_SD_b.kd
    .uniform_work_group_size: 1
    .uses_dynamic_stack: false
    .vgpr_count:     78
    .vgpr_spill_count: 0
    .wavefront_size: 32
    .workgroup_processor_mode: 1
  - .args:
      - .offset:         0
        .size:           4
        .value_kind:     by_value
      - .offset:         4
        .size:           4
        .value_kind:     by_value
      - .offset:         8
        .size:           4
        .value_kind:     by_value
      - .offset:         12
        .size:           4
        .value_kind:     by_value
      - .offset:         16
        .size:           8
        .value_kind:     by_value
      - .actual_access:  read_only
        .address_space:  global
        .offset:         24
        .size:           8
        .value_kind:     global_buffer
      - .actual_access:  read_only
        .address_space:  global
        .offset:         32
        .size:           8
        .value_kind:     global_buffer
      - .actual_access:  read_only
        .address_space:  global
        .offset:         40
        .size:           8
        .value_kind:     global_buffer
      - .offset:         48
        .size:           8
        .value_kind:     by_value
      - .actual_access:  read_only
        .address_space:  global
        .offset:         56
        .size:           8
        .value_kind:     global_buffer
      - .actual_access:  read_only
        .address_space:  global
        .offset:         64
        .size:           8
        .value_kind:     global_buffer
      - .actual_access:  read_only
        .address_space:  global
        .offset:         72
        .size:           8
        .value_kind:     global_buffer
      - .actual_access:  read_only
        .address_space:  global
        .offset:         80
        .size:           8
        .value_kind:     global_buffer
      - .actual_access:  write_only
        .address_space:  global
        .offset:         88
        .size:           8
        .value_kind:     global_buffer
      - .actual_access:  write_only
        .address_space:  global
        .offset:         96
        .size:           8
        .value_kind:     global_buffer
      - .offset:         104
        .size:           4
        .value_kind:     by_value
      - .offset:         108
        .size:           4
        .value_kind:     by_value
      - .offset:         112
        .size:           4
        .value_kind:     by_value
      - .offset:         116
        .size:           1
        .value_kind:     by_value
    .group_segment_fixed_size: 544
    .kernarg_segment_align: 8
    .kernarg_segment_size: 120
    .language:       OpenCL C
    .language_version:
      - 2
      - 0
    .max_flat_workgroup_size: 64
    .name:           _ZN9rocsparseL35bsrgeam_wf_per_row_multipass_kernelILj64ELj4E21rocsparse_complex_numIfEEEv20rocsparse_direction_iiiNS_24const_host_device_scalarIT1_EEPKiS8_PKS5_S6_S8_S8_SA_S8_PiPS5_21rocsparse_index_base_SD_SD_b
    .private_segment_fixed_size: 0
    .sgpr_count:     34
    .sgpr_spill_count: 0
    .symbol:         _ZN9rocsparseL35bsrgeam_wf_per_row_multipass_kernelILj64ELj4E21rocsparse_complex_numIfEEEv20rocsparse_direction_iiiNS_24const_host_device_scalarIT1_EEPKiS8_PKS5_S6_S8_S8_SA_S8_PiPS5_21rocsparse_index_base_SD_SD_b.kd
    .uniform_work_group_size: 1
    .uses_dynamic_stack: false
    .vgpr_count:     31
    .vgpr_spill_count: 0
    .wavefront_size: 32
    .workgroup_processor_mode: 1
  - .args:
      - .offset:         0
        .size:           4
        .value_kind:     by_value
      - .offset:         4
        .size:           4
        .value_kind:     by_value
      - .offset:         8
        .size:           4
        .value_kind:     by_value
      - .offset:         12
        .size:           4
        .value_kind:     by_value
      - .offset:         16
        .size:           8
        .value_kind:     by_value
      - .actual_access:  read_only
        .address_space:  global
        .offset:         24
        .size:           8
        .value_kind:     global_buffer
      - .actual_access:  read_only
        .address_space:  global
        .offset:         32
        .size:           8
        .value_kind:     global_buffer
      - .actual_access:  read_only
        .address_space:  global
        .offset:         40
        .size:           8
        .value_kind:     global_buffer
      - .offset:         48
        .size:           8
        .value_kind:     by_value
      - .actual_access:  read_only
        .address_space:  global
        .offset:         56
        .size:           8
        .value_kind:     global_buffer
      - .actual_access:  read_only
        .address_space:  global
        .offset:         64
        .size:           8
        .value_kind:     global_buffer
      - .actual_access:  read_only
        .address_space:  global
        .offset:         72
        .size:           8
        .value_kind:     global_buffer
      - .actual_access:  read_only
        .address_space:  global
        .offset:         80
        .size:           8
        .value_kind:     global_buffer
      - .actual_access:  write_only
        .address_space:  global
        .offset:         88
        .size:           8
        .value_kind:     global_buffer
      - .actual_access:  write_only
        .address_space:  global
        .offset:         96
        .size:           8
        .value_kind:     global_buffer
      - .offset:         104
        .size:           4
        .value_kind:     by_value
      - .offset:         108
        .size:           4
        .value_kind:     by_value
      - .offset:         112
        .size:           4
        .value_kind:     by_value
      - .offset:         116
        .size:           1
        .value_kind:     by_value
    .group_segment_fixed_size: 520
    .kernarg_segment_align: 8
    .kernarg_segment_size: 120
    .language:       OpenCL C
    .language_version:
      - 2
      - 0
    .max_flat_workgroup_size: 64
    .name:           _ZN9rocsparseL35bsrgeam_wf_per_row_multipass_kernelILj64ELj8E21rocsparse_complex_numIfEEEv20rocsparse_direction_iiiNS_24const_host_device_scalarIT1_EEPKiS8_PKS5_S6_S8_S8_SA_S8_PiPS5_21rocsparse_index_base_SD_SD_b
    .private_segment_fixed_size: 0
    .sgpr_count:     32
    .sgpr_spill_count: 0
    .symbol:         _ZN9rocsparseL35bsrgeam_wf_per_row_multipass_kernelILj64ELj8E21rocsparse_complex_numIfEEEv20rocsparse_direction_iiiNS_24const_host_device_scalarIT1_EEPKiS8_PKS5_S6_S8_S8_SA_S8_PiPS5_21rocsparse_index_base_SD_SD_b.kd
    .uniform_work_group_size: 1
    .uses_dynamic_stack: false
    .vgpr_count:     30
    .vgpr_spill_count: 0
    .wavefront_size: 32
    .workgroup_processor_mode: 1
  - .args:
      - .offset:         0
        .size:           4
        .value_kind:     by_value
      - .offset:         4
        .size:           4
        .value_kind:     by_value
      - .offset:         8
        .size:           4
        .value_kind:     by_value
      - .offset:         12
        .size:           4
        .value_kind:     by_value
      - .offset:         16
        .size:           8
        .value_kind:     by_value
      - .actual_access:  read_only
        .address_space:  global
        .offset:         24
        .size:           8
        .value_kind:     global_buffer
      - .actual_access:  read_only
        .address_space:  global
        .offset:         32
        .size:           8
        .value_kind:     global_buffer
      - .actual_access:  read_only
        .address_space:  global
        .offset:         40
        .size:           8
        .value_kind:     global_buffer
      - .offset:         48
        .size:           8
        .value_kind:     by_value
      - .actual_access:  read_only
        .address_space:  global
        .offset:         56
        .size:           8
        .value_kind:     global_buffer
      - .actual_access:  read_only
        .address_space:  global
        .offset:         64
        .size:           8
        .value_kind:     global_buffer
      - .actual_access:  read_only
        .address_space:  global
        .offset:         72
        .size:           8
        .value_kind:     global_buffer
      - .actual_access:  read_only
        .address_space:  global
        .offset:         80
        .size:           8
        .value_kind:     global_buffer
      - .actual_access:  write_only
        .address_space:  global
        .offset:         88
        .size:           8
        .value_kind:     global_buffer
      - .actual_access:  write_only
        .address_space:  global
        .offset:         96
        .size:           8
        .value_kind:     global_buffer
      - .offset:         104
        .size:           4
        .value_kind:     by_value
      - .offset:         108
        .size:           4
        .value_kind:     by_value
      - .offset:         112
        .size:           4
        .value_kind:     by_value
      - .offset:         116
        .size:           1
        .value_kind:     by_value
    .group_segment_fixed_size: 2052
    .kernarg_segment_align: 8
    .kernarg_segment_size: 120
    .language:       OpenCL C
    .language_version:
      - 2
      - 0
    .max_flat_workgroup_size: 256
    .name:           _ZN9rocsparseL39bsrgeam_block_per_row_multipass_kernel2ILj256ELj16E21rocsparse_complex_numIfEEEv20rocsparse_direction_iiiNS_24const_host_device_scalarIT1_EEPKiS8_PKS5_S6_S8_S8_SA_S8_PiPS5_21rocsparse_index_base_SD_SD_b
    .private_segment_fixed_size: 0
    .sgpr_count:     38
    .sgpr_spill_count: 0
    .symbol:         _ZN9rocsparseL39bsrgeam_block_per_row_multipass_kernel2ILj256ELj16E21rocsparse_complex_numIfEEEv20rocsparse_direction_iiiNS_24const_host_device_scalarIT1_EEPKiS8_PKS5_S6_S8_S8_SA_S8_PiPS5_21rocsparse_index_base_SD_SD_b.kd
    .uniform_work_group_size: 1
    .uses_dynamic_stack: false
    .vgpr_count:     25
    .vgpr_spill_count: 0
    .wavefront_size: 32
    .workgroup_processor_mode: 1
  - .args:
      - .offset:         0
        .size:           4
        .value_kind:     by_value
      - .offset:         4
        .size:           4
        .value_kind:     by_value
      - .offset:         8
        .size:           4
        .value_kind:     by_value
      - .offset:         12
        .size:           4
        .value_kind:     by_value
      - .offset:         16
        .size:           8
        .value_kind:     by_value
      - .actual_access:  read_only
        .address_space:  global
        .offset:         24
        .size:           8
        .value_kind:     global_buffer
      - .actual_access:  read_only
        .address_space:  global
        .offset:         32
        .size:           8
        .value_kind:     global_buffer
      - .actual_access:  read_only
        .address_space:  global
        .offset:         40
        .size:           8
        .value_kind:     global_buffer
      - .offset:         48
        .size:           8
        .value_kind:     by_value
      - .actual_access:  read_only
        .address_space:  global
        .offset:         56
        .size:           8
        .value_kind:     global_buffer
      - .actual_access:  read_only
        .address_space:  global
        .offset:         64
        .size:           8
        .value_kind:     global_buffer
      - .actual_access:  read_only
        .address_space:  global
        .offset:         72
        .size:           8
        .value_kind:     global_buffer
      - .actual_access:  read_only
        .address_space:  global
        .offset:         80
        .size:           8
        .value_kind:     global_buffer
      - .actual_access:  write_only
        .address_space:  global
        .offset:         88
        .size:           8
        .value_kind:     global_buffer
      - .actual_access:  write_only
        .address_space:  global
        .offset:         96
        .size:           8
        .value_kind:     global_buffer
      - .offset:         104
        .size:           4
        .value_kind:     by_value
      - .offset:         108
        .size:           4
        .value_kind:     by_value
      - .offset:         112
        .size:           4
        .value_kind:     by_value
      - .offset:         116
        .size:           1
        .value_kind:     by_value
    .group_segment_fixed_size: 8196
    .kernarg_segment_align: 8
    .kernarg_segment_size: 120
    .language:       OpenCL C
    .language_version:
      - 2
      - 0
    .max_flat_workgroup_size: 256
    .name:           _ZN9rocsparseL39bsrgeam_block_per_row_multipass_kernel2ILj256ELj32E21rocsparse_complex_numIfEEEv20rocsparse_direction_iiiNS_24const_host_device_scalarIT1_EEPKiS8_PKS5_S6_S8_S8_SA_S8_PiPS5_21rocsparse_index_base_SD_SD_b
    .private_segment_fixed_size: 0
    .sgpr_count:     43
    .sgpr_spill_count: 0
    .symbol:         _ZN9rocsparseL39bsrgeam_block_per_row_multipass_kernel2ILj256ELj32E21rocsparse_complex_numIfEEEv20rocsparse_direction_iiiNS_24const_host_device_scalarIT1_EEPKiS8_PKS5_S6_S8_S8_SA_S8_PiPS5_21rocsparse_index_base_SD_SD_b.kd
    .uniform_work_group_size: 1
    .uses_dynamic_stack: false
    .vgpr_count:     30
    .vgpr_spill_count: 0
    .wavefront_size: 32
    .workgroup_processor_mode: 1
  - .args:
      - .offset:         0
        .size:           4
        .value_kind:     by_value
      - .offset:         4
        .size:           4
        .value_kind:     by_value
      - .offset:         8
        .size:           4
        .value_kind:     by_value
      - .offset:         12
        .size:           4
        .value_kind:     by_value
      - .offset:         16
        .size:           16
        .value_kind:     by_value
      - .actual_access:  read_only
        .address_space:  global
        .offset:         32
        .size:           8
        .value_kind:     global_buffer
      - .actual_access:  read_only
        .address_space:  global
        .offset:         40
        .size:           8
        .value_kind:     global_buffer
      - .actual_access:  read_only
        .address_space:  global
        .offset:         48
        .size:           8
        .value_kind:     global_buffer
      - .offset:         56
        .size:           16
        .value_kind:     by_value
      - .actual_access:  read_only
        .address_space:  global
        .offset:         72
        .size:           8
        .value_kind:     global_buffer
      - .actual_access:  read_only
        .address_space:  global
        .offset:         80
        .size:           8
        .value_kind:     global_buffer
      - .actual_access:  read_only
        .address_space:  global
        .offset:         88
        .size:           8
        .value_kind:     global_buffer
      - .actual_access:  read_only
        .address_space:  global
        .offset:         96
        .size:           8
        .value_kind:     global_buffer
      - .actual_access:  write_only
        .address_space:  global
        .offset:         104
        .size:           8
        .value_kind:     global_buffer
      - .actual_access:  write_only
        .address_space:  global
        .offset:         112
        .size:           8
        .value_kind:     global_buffer
      - .offset:         120
        .size:           4
        .value_kind:     by_value
      - .offset:         124
        .size:           4
        .value_kind:     by_value
      - .offset:         128
        .size:           4
        .value_kind:     by_value
      - .offset:         132
        .size:           1
        .value_kind:     by_value
    .group_segment_fixed_size: 18688
    .kernarg_segment_align: 8
    .kernarg_segment_size: 136
    .language:       OpenCL C
    .language_version:
      - 2
      - 0
    .max_flat_workgroup_size: 256
    .name:           _ZN9rocsparseL39bsrgeam_wf_per_row_multipass_2_3_kernelILj256ELj2ELj32E21rocsparse_complex_numIdEEEv20rocsparse_direction_iiiNS_24const_host_device_scalarIT2_EEPKiS8_PKS5_S6_S8_S8_SA_S8_PiPS5_21rocsparse_index_base_SD_SD_b
    .private_segment_fixed_size: 16
    .sgpr_count:     30
    .sgpr_spill_count: 0
    .symbol:         _ZN9rocsparseL39bsrgeam_wf_per_row_multipass_2_3_kernelILj256ELj2ELj32E21rocsparse_complex_numIdEEEv20rocsparse_direction_iiiNS_24const_host_device_scalarIT2_EEPKiS8_PKS5_S6_S8_S8_SA_S8_PiPS5_21rocsparse_index_base_SD_SD_b.kd
    .uniform_work_group_size: 1
    .uses_dynamic_stack: false
    .vgpr_count:     68
    .vgpr_spill_count: 0
    .wavefront_size: 32
    .workgroup_processor_mode: 1
  - .args:
      - .offset:         0
        .size:           4
        .value_kind:     by_value
      - .offset:         4
        .size:           4
        .value_kind:     by_value
      - .offset:         8
        .size:           4
        .value_kind:     by_value
      - .offset:         12
        .size:           4
        .value_kind:     by_value
      - .offset:         16
        .size:           16
        .value_kind:     by_value
      - .actual_access:  read_only
        .address_space:  global
        .offset:         32
        .size:           8
        .value_kind:     global_buffer
      - .actual_access:  read_only
        .address_space:  global
        .offset:         40
        .size:           8
        .value_kind:     global_buffer
      - .actual_access:  read_only
        .address_space:  global
        .offset:         48
        .size:           8
        .value_kind:     global_buffer
      - .offset:         56
        .size:           16
        .value_kind:     by_value
      - .actual_access:  read_only
        .address_space:  global
        .offset:         72
        .size:           8
        .value_kind:     global_buffer
      - .actual_access:  read_only
        .address_space:  global
        .offset:         80
        .size:           8
        .value_kind:     global_buffer
      - .actual_access:  read_only
        .address_space:  global
        .offset:         88
        .size:           8
        .value_kind:     global_buffer
      - .actual_access:  read_only
        .address_space:  global
        .offset:         96
        .size:           8
        .value_kind:     global_buffer
      - .actual_access:  write_only
        .address_space:  global
        .offset:         104
        .size:           8
        .value_kind:     global_buffer
      - .actual_access:  write_only
        .address_space:  global
        .offset:         112
        .size:           8
        .value_kind:     global_buffer
      - .offset:         120
        .size:           4
        .value_kind:     by_value
      - .offset:         124
        .size:           4
        .value_kind:     by_value
      - .offset:         128
        .size:           4
        .value_kind:     by_value
      - .offset:         132
        .size:           1
        .value_kind:     by_value
    .group_segment_fixed_size: 18688
    .kernarg_segment_align: 8
    .kernarg_segment_size: 136
    .language:       OpenCL C
    .language_version:
      - 2
      - 0
    .max_flat_workgroup_size: 256
    .name:           _ZN9rocsparseL39bsrgeam_wf_per_row_multipass_2_3_kernelILj256ELj2ELj64E21rocsparse_complex_numIdEEEv20rocsparse_direction_iiiNS_24const_host_device_scalarIT2_EEPKiS8_PKS5_S6_S8_S8_SA_S8_PiPS5_21rocsparse_index_base_SD_SD_b
    .private_segment_fixed_size: 16
    .sgpr_count:     30
    .sgpr_spill_count: 0
    .symbol:         _ZN9rocsparseL39bsrgeam_wf_per_row_multipass_2_3_kernelILj256ELj2ELj64E21rocsparse_complex_numIdEEEv20rocsparse_direction_iiiNS_24const_host_device_scalarIT2_EEPKiS8_PKS5_S6_S8_S8_SA_S8_PiPS5_21rocsparse_index_base_SD_SD_b.kd
    .uniform_work_group_size: 1
    .uses_dynamic_stack: false
    .vgpr_count:     69
    .vgpr_spill_count: 0
    .wavefront_size: 32
    .workgroup_processor_mode: 1
  - .args:
      - .offset:         0
        .size:           4
        .value_kind:     by_value
      - .offset:         4
        .size:           4
        .value_kind:     by_value
      - .offset:         8
        .size:           4
        .value_kind:     by_value
      - .offset:         12
        .size:           4
        .value_kind:     by_value
      - .offset:         16
        .size:           16
        .value_kind:     by_value
      - .actual_access:  read_only
        .address_space:  global
        .offset:         32
        .size:           8
        .value_kind:     global_buffer
      - .actual_access:  read_only
        .address_space:  global
        .offset:         40
        .size:           8
        .value_kind:     global_buffer
      - .actual_access:  read_only
        .address_space:  global
        .offset:         48
        .size:           8
        .value_kind:     global_buffer
      - .offset:         56
        .size:           16
        .value_kind:     by_value
      - .actual_access:  read_only
        .address_space:  global
        .offset:         72
        .size:           8
        .value_kind:     global_buffer
      - .actual_access:  read_only
        .address_space:  global
        .offset:         80
        .size:           8
        .value_kind:     global_buffer
      - .actual_access:  read_only
        .address_space:  global
        .offset:         88
        .size:           8
        .value_kind:     global_buffer
      - .actual_access:  read_only
        .address_space:  global
        .offset:         96
        .size:           8
        .value_kind:     global_buffer
      - .actual_access:  write_only
        .address_space:  global
        .offset:         104
        .size:           8
        .value_kind:     global_buffer
      - .actual_access:  write_only
        .address_space:  global
        .offset:         112
        .size:           8
        .value_kind:     global_buffer
      - .offset:         120
        .size:           4
        .value_kind:     by_value
      - .offset:         124
        .size:           4
        .value_kind:     by_value
      - .offset:         128
        .size:           4
        .value_kind:     by_value
      - .offset:         132
        .size:           1
        .value_kind:     by_value
    .group_segment_fixed_size: 41216
    .kernarg_segment_align: 8
    .kernarg_segment_size: 136
    .language:       OpenCL C
    .language_version:
      - 2
      - 0
    .max_flat_workgroup_size: 256
    .name:           _ZN9rocsparseL39bsrgeam_wf_per_row_multipass_2_3_kernelILj256ELj3ELj32E21rocsparse_complex_numIdEEEv20rocsparse_direction_iiiNS_24const_host_device_scalarIT2_EEPKiS8_PKS5_S6_S8_S8_SA_S8_PiPS5_21rocsparse_index_base_SD_SD_b
    .private_segment_fixed_size: 0
    .sgpr_count:     30
    .sgpr_spill_count: 0
    .symbol:         _ZN9rocsparseL39bsrgeam_wf_per_row_multipass_2_3_kernelILj256ELj3ELj32E21rocsparse_complex_numIdEEEv20rocsparse_direction_iiiNS_24const_host_device_scalarIT2_EEPKiS8_PKS5_S6_S8_S8_SA_S8_PiPS5_21rocsparse_index_base_SD_SD_b.kd
    .uniform_work_group_size: 1
    .uses_dynamic_stack: false
    .vgpr_count:     124
    .vgpr_spill_count: 0
    .wavefront_size: 32
    .workgroup_processor_mode: 1
  - .args:
      - .offset:         0
        .size:           4
        .value_kind:     by_value
      - .offset:         4
        .size:           4
        .value_kind:     by_value
      - .offset:         8
        .size:           4
        .value_kind:     by_value
      - .offset:         12
        .size:           4
        .value_kind:     by_value
      - .offset:         16
        .size:           16
        .value_kind:     by_value
      - .actual_access:  read_only
        .address_space:  global
        .offset:         32
        .size:           8
        .value_kind:     global_buffer
      - .actual_access:  read_only
        .address_space:  global
        .offset:         40
        .size:           8
        .value_kind:     global_buffer
      - .actual_access:  read_only
        .address_space:  global
        .offset:         48
        .size:           8
        .value_kind:     global_buffer
      - .offset:         56
        .size:           16
        .value_kind:     by_value
      - .actual_access:  read_only
        .address_space:  global
        .offset:         72
        .size:           8
        .value_kind:     global_buffer
      - .actual_access:  read_only
        .address_space:  global
        .offset:         80
        .size:           8
        .value_kind:     global_buffer
      - .actual_access:  read_only
        .address_space:  global
        .offset:         88
        .size:           8
        .value_kind:     global_buffer
      - .actual_access:  read_only
        .address_space:  global
        .offset:         96
        .size:           8
        .value_kind:     global_buffer
      - .actual_access:  write_only
        .address_space:  global
        .offset:         104
        .size:           8
        .value_kind:     global_buffer
      - .actual_access:  write_only
        .address_space:  global
        .offset:         112
        .size:           8
        .value_kind:     global_buffer
      - .offset:         120
        .size:           4
        .value_kind:     by_value
      - .offset:         124
        .size:           4
        .value_kind:     by_value
      - .offset:         128
        .size:           4
        .value_kind:     by_value
      - .offset:         132
        .size:           1
        .value_kind:     by_value
    .group_segment_fixed_size: 41216
    .kernarg_segment_align: 8
    .kernarg_segment_size: 136
    .language:       OpenCL C
    .language_version:
      - 2
      - 0
    .max_flat_workgroup_size: 256
    .name:           _ZN9rocsparseL39bsrgeam_wf_per_row_multipass_2_3_kernelILj256ELj3ELj64E21rocsparse_complex_numIdEEEv20rocsparse_direction_iiiNS_24const_host_device_scalarIT2_EEPKiS8_PKS5_S6_S8_S8_SA_S8_PiPS5_21rocsparse_index_base_SD_SD_b
    .private_segment_fixed_size: 0
    .sgpr_count:     30
    .sgpr_spill_count: 0
    .symbol:         _ZN9rocsparseL39bsrgeam_wf_per_row_multipass_2_3_kernelILj256ELj3ELj64E21rocsparse_complex_numIdEEEv20rocsparse_direction_iiiNS_24const_host_device_scalarIT2_EEPKiS8_PKS5_S6_S8_S8_SA_S8_PiPS5_21rocsparse_index_base_SD_SD_b.kd
    .uniform_work_group_size: 1
    .uses_dynamic_stack: false
    .vgpr_count:     126
    .vgpr_spill_count: 0
    .wavefront_size: 32
    .workgroup_processor_mode: 1
  - .args:
      - .offset:         0
        .size:           4
        .value_kind:     by_value
      - .offset:         4
        .size:           4
        .value_kind:     by_value
      - .offset:         8
        .size:           4
        .value_kind:     by_value
      - .offset:         12
        .size:           4
        .value_kind:     by_value
      - .offset:         16
        .size:           16
        .value_kind:     by_value
      - .actual_access:  read_only
        .address_space:  global
        .offset:         32
        .size:           8
        .value_kind:     global_buffer
      - .actual_access:  read_only
        .address_space:  global
        .offset:         40
        .size:           8
        .value_kind:     global_buffer
      - .actual_access:  read_only
        .address_space:  global
        .offset:         48
        .size:           8
        .value_kind:     global_buffer
      - .offset:         56
        .size:           16
        .value_kind:     by_value
      - .actual_access:  read_only
        .address_space:  global
        .offset:         72
        .size:           8
        .value_kind:     global_buffer
      - .actual_access:  read_only
        .address_space:  global
        .offset:         80
        .size:           8
        .value_kind:     global_buffer
      - .actual_access:  read_only
        .address_space:  global
        .offset:         88
        .size:           8
        .value_kind:     global_buffer
      - .actual_access:  read_only
        .address_space:  global
        .offset:         96
        .size:           8
        .value_kind:     global_buffer
      - .actual_access:  write_only
        .address_space:  global
        .offset:         104
        .size:           8
        .value_kind:     global_buffer
      - .actual_access:  write_only
        .address_space:  global
        .offset:         112
        .size:           8
        .value_kind:     global_buffer
      - .offset:         120
        .size:           4
        .value_kind:     by_value
      - .offset:         124
        .size:           4
        .value_kind:     by_value
      - .offset:         128
        .size:           4
        .value_kind:     by_value
      - .offset:         132
        .size:           1
        .value_kind:     by_value
    .group_segment_fixed_size: 2080
    .kernarg_segment_align: 8
    .kernarg_segment_size: 136
    .language:       OpenCL C
    .language_version:
      - 2
      - 0
    .max_flat_workgroup_size: 64
    .name:           _ZN9rocsparseL35bsrgeam_wf_per_row_multipass_kernelILj64ELj4E21rocsparse_complex_numIdEEEv20rocsparse_direction_iiiNS_24const_host_device_scalarIT1_EEPKiS8_PKS5_S6_S8_S8_SA_S8_PiPS5_21rocsparse_index_base_SD_SD_b
    .private_segment_fixed_size: 0
    .sgpr_count:     30
    .sgpr_spill_count: 0
    .symbol:         _ZN9rocsparseL35bsrgeam_wf_per_row_multipass_kernelILj64ELj4E21rocsparse_complex_numIdEEEv20rocsparse_direction_iiiNS_24const_host_device_scalarIT1_EEPKiS8_PKS5_S6_S8_S8_SA_S8_PiPS5_21rocsparse_index_base_SD_SD_b.kd
    .uniform_work_group_size: 1
    .uses_dynamic_stack: false
    .vgpr_count:     45
    .vgpr_spill_count: 0
    .wavefront_size: 32
    .workgroup_processor_mode: 1
  - .args:
      - .offset:         0
        .size:           4
        .value_kind:     by_value
      - .offset:         4
        .size:           4
        .value_kind:     by_value
      - .offset:         8
        .size:           4
        .value_kind:     by_value
      - .offset:         12
        .size:           4
        .value_kind:     by_value
      - .offset:         16
        .size:           16
        .value_kind:     by_value
      - .actual_access:  read_only
        .address_space:  global
        .offset:         32
        .size:           8
        .value_kind:     global_buffer
      - .actual_access:  read_only
        .address_space:  global
        .offset:         40
        .size:           8
        .value_kind:     global_buffer
      - .actual_access:  read_only
        .address_space:  global
        .offset:         48
        .size:           8
        .value_kind:     global_buffer
      - .offset:         56
        .size:           16
        .value_kind:     by_value
      - .actual_access:  read_only
        .address_space:  global
        .offset:         72
        .size:           8
        .value_kind:     global_buffer
      - .actual_access:  read_only
        .address_space:  global
        .offset:         80
        .size:           8
        .value_kind:     global_buffer
      - .actual_access:  read_only
        .address_space:  global
        .offset:         88
        .size:           8
        .value_kind:     global_buffer
      - .actual_access:  read_only
        .address_space:  global
        .offset:         96
        .size:           8
        .value_kind:     global_buffer
      - .actual_access:  write_only
        .address_space:  global
        .offset:         104
        .size:           8
        .value_kind:     global_buffer
      - .actual_access:  write_only
        .address_space:  global
        .offset:         112
        .size:           8
        .value_kind:     global_buffer
      - .offset:         120
        .size:           4
        .value_kind:     by_value
      - .offset:         124
        .size:           4
        .value_kind:     by_value
      - .offset:         128
        .size:           4
        .value_kind:     by_value
      - .offset:         132
        .size:           1
        .value_kind:     by_value
    .group_segment_fixed_size: 2056
    .kernarg_segment_align: 8
    .kernarg_segment_size: 136
    .language:       OpenCL C
    .language_version:
      - 2
      - 0
    .max_flat_workgroup_size: 64
    .name:           _ZN9rocsparseL35bsrgeam_wf_per_row_multipass_kernelILj64ELj8E21rocsparse_complex_numIdEEEv20rocsparse_direction_iiiNS_24const_host_device_scalarIT1_EEPKiS8_PKS5_S6_S8_S8_SA_S8_PiPS5_21rocsparse_index_base_SD_SD_b
    .private_segment_fixed_size: 0
    .sgpr_count:     28
    .sgpr_spill_count: 0
    .symbol:         _ZN9rocsparseL35bsrgeam_wf_per_row_multipass_kernelILj64ELj8E21rocsparse_complex_numIdEEEv20rocsparse_direction_iiiNS_24const_host_device_scalarIT1_EEPKiS8_PKS5_S6_S8_S8_SA_S8_PiPS5_21rocsparse_index_base_SD_SD_b.kd
    .uniform_work_group_size: 1
    .uses_dynamic_stack: false
    .vgpr_count:     44
    .vgpr_spill_count: 0
    .wavefront_size: 32
    .workgroup_processor_mode: 1
  - .args:
      - .offset:         0
        .size:           4
        .value_kind:     by_value
      - .offset:         4
        .size:           4
        .value_kind:     by_value
      - .offset:         8
        .size:           4
        .value_kind:     by_value
      - .offset:         12
        .size:           4
        .value_kind:     by_value
      - .offset:         16
        .size:           16
        .value_kind:     by_value
      - .actual_access:  read_only
        .address_space:  global
        .offset:         32
        .size:           8
        .value_kind:     global_buffer
      - .actual_access:  read_only
        .address_space:  global
        .offset:         40
        .size:           8
        .value_kind:     global_buffer
      - .actual_access:  read_only
        .address_space:  global
        .offset:         48
        .size:           8
        .value_kind:     global_buffer
      - .offset:         56
        .size:           16
        .value_kind:     by_value
      - .actual_access:  read_only
        .address_space:  global
        .offset:         72
        .size:           8
        .value_kind:     global_buffer
      - .actual_access:  read_only
        .address_space:  global
        .offset:         80
        .size:           8
        .value_kind:     global_buffer
      - .actual_access:  read_only
        .address_space:  global
        .offset:         88
        .size:           8
        .value_kind:     global_buffer
      - .actual_access:  read_only
        .address_space:  global
        .offset:         96
        .size:           8
        .value_kind:     global_buffer
      - .actual_access:  write_only
        .address_space:  global
        .offset:         104
        .size:           8
        .value_kind:     global_buffer
      - .actual_access:  write_only
        .address_space:  global
        .offset:         112
        .size:           8
        .value_kind:     global_buffer
      - .offset:         120
        .size:           4
        .value_kind:     by_value
      - .offset:         124
        .size:           4
        .value_kind:     by_value
      - .offset:         128
        .size:           4
        .value_kind:     by_value
      - .offset:         132
        .size:           1
        .value_kind:     by_value
    .group_segment_fixed_size: 8200
    .kernarg_segment_align: 8
    .kernarg_segment_size: 136
    .language:       OpenCL C
    .language_version:
      - 2
      - 0
    .max_flat_workgroup_size: 256
    .name:           _ZN9rocsparseL39bsrgeam_block_per_row_multipass_kernel2ILj256ELj16E21rocsparse_complex_numIdEEEv20rocsparse_direction_iiiNS_24const_host_device_scalarIT1_EEPKiS8_PKS5_S6_S8_S8_SA_S8_PiPS5_21rocsparse_index_base_SD_SD_b
    .private_segment_fixed_size: 0
    .sgpr_count:     32
    .sgpr_spill_count: 0
    .symbol:         _ZN9rocsparseL39bsrgeam_block_per_row_multipass_kernel2ILj256ELj16E21rocsparse_complex_numIdEEEv20rocsparse_direction_iiiNS_24const_host_device_scalarIT1_EEPKiS8_PKS5_S6_S8_S8_SA_S8_PiPS5_21rocsparse_index_base_SD_SD_b.kd
    .uniform_work_group_size: 1
    .uses_dynamic_stack: false
    .vgpr_count:     38
    .vgpr_spill_count: 0
    .wavefront_size: 32
    .workgroup_processor_mode: 1
  - .args:
      - .offset:         0
        .size:           4
        .value_kind:     by_value
      - .offset:         4
        .size:           4
        .value_kind:     by_value
      - .offset:         8
        .size:           4
        .value_kind:     by_value
      - .offset:         12
        .size:           4
        .value_kind:     by_value
      - .offset:         16
        .size:           16
        .value_kind:     by_value
      - .actual_access:  read_only
        .address_space:  global
        .offset:         32
        .size:           8
        .value_kind:     global_buffer
      - .actual_access:  read_only
        .address_space:  global
        .offset:         40
        .size:           8
        .value_kind:     global_buffer
      - .actual_access:  read_only
        .address_space:  global
        .offset:         48
        .size:           8
        .value_kind:     global_buffer
      - .offset:         56
        .size:           16
        .value_kind:     by_value
      - .actual_access:  read_only
        .address_space:  global
        .offset:         72
        .size:           8
        .value_kind:     global_buffer
      - .actual_access:  read_only
        .address_space:  global
        .offset:         80
        .size:           8
        .value_kind:     global_buffer
      - .actual_access:  read_only
        .address_space:  global
        .offset:         88
        .size:           8
        .value_kind:     global_buffer
      - .actual_access:  read_only
        .address_space:  global
        .offset:         96
        .size:           8
        .value_kind:     global_buffer
      - .actual_access:  write_only
        .address_space:  global
        .offset:         104
        .size:           8
        .value_kind:     global_buffer
      - .actual_access:  write_only
        .address_space:  global
        .offset:         112
        .size:           8
        .value_kind:     global_buffer
      - .offset:         120
        .size:           4
        .value_kind:     by_value
      - .offset:         124
        .size:           4
        .value_kind:     by_value
      - .offset:         128
        .size:           4
        .value_kind:     by_value
      - .offset:         132
        .size:           1
        .value_kind:     by_value
    .group_segment_fixed_size: 18440
    .kernarg_segment_align: 8
    .kernarg_segment_size: 136
    .language:       OpenCL C
    .language_version:
      - 2
      - 0
    .max_flat_workgroup_size: 256
    .name:           _ZN9rocsparseL39bsrgeam_block_per_row_multipass_kernel2ILj256ELj32E21rocsparse_complex_numIdEEEv20rocsparse_direction_iiiNS_24const_host_device_scalarIT1_EEPKiS8_PKS5_S6_S8_S8_SA_S8_PiPS5_21rocsparse_index_base_SD_SD_b
    .private_segment_fixed_size: 16
    .sgpr_count:     42
    .sgpr_spill_count: 0
    .symbol:         _ZN9rocsparseL39bsrgeam_block_per_row_multipass_kernel2ILj256ELj32E21rocsparse_complex_numIdEEEv20rocsparse_direction_iiiNS_24const_host_device_scalarIT1_EEPKiS8_PKS5_S6_S8_S8_SA_S8_PiPS5_21rocsparse_index_base_SD_SD_b.kd
    .uniform_work_group_size: 1
    .uses_dynamic_stack: false
    .vgpr_count:     44
    .vgpr_spill_count: 0
    .wavefront_size: 32
    .workgroup_processor_mode: 1
amdhsa.target:   amdgcn-amd-amdhsa--gfx1100
amdhsa.version:
  - 1
  - 2
...

	.end_amdgpu_metadata
